;; amdgpu-corpus repo=ROCm/rocFFT kind=compiled arch=gfx906 opt=O3
	.text
	.amdgcn_target "amdgcn-amd-amdhsa--gfx906"
	.amdhsa_code_object_version 6
	.protected	fft_rtc_back_len2250_factors_10_3_5_3_5_wgs_90_tpt_90_halfLds_half_ip_CI_unitstride_sbrr_R2C_dirReg ; -- Begin function fft_rtc_back_len2250_factors_10_3_5_3_5_wgs_90_tpt_90_halfLds_half_ip_CI_unitstride_sbrr_R2C_dirReg
	.globl	fft_rtc_back_len2250_factors_10_3_5_3_5_wgs_90_tpt_90_halfLds_half_ip_CI_unitstride_sbrr_R2C_dirReg
	.p2align	8
	.type	fft_rtc_back_len2250_factors_10_3_5_3_5_wgs_90_tpt_90_halfLds_half_ip_CI_unitstride_sbrr_R2C_dirReg,@function
fft_rtc_back_len2250_factors_10_3_5_3_5_wgs_90_tpt_90_halfLds_half_ip_CI_unitstride_sbrr_R2C_dirReg: ; @fft_rtc_back_len2250_factors_10_3_5_3_5_wgs_90_tpt_90_halfLds_half_ip_CI_unitstride_sbrr_R2C_dirReg
; %bb.0:
	s_load_dwordx2 s[12:13], s[4:5], 0x50
	s_load_dwordx4 s[8:11], s[4:5], 0x0
	s_load_dwordx2 s[2:3], s[4:5], 0x18
	v_mul_u32_u24_e32 v1, 0x2d9, v0
	v_add_u32_sdwa v5, s6, v1 dst_sel:DWORD dst_unused:UNUSED_PAD src0_sel:DWORD src1_sel:WORD_1
	v_mov_b32_e32 v3, 0
	s_waitcnt lgkmcnt(0)
	v_cmp_lt_u64_e64 s[0:1], s[10:11], 2
	v_mov_b32_e32 v1, 0
	v_mov_b32_e32 v6, v3
	s_and_b64 vcc, exec, s[0:1]
	v_mov_b32_e32 v2, 0
	s_cbranch_vccnz .LBB0_8
; %bb.1:
	s_load_dwordx2 s[0:1], s[4:5], 0x10
	s_add_u32 s6, s2, 8
	s_addc_u32 s7, s3, 0
	v_mov_b32_e32 v1, 0
	v_mov_b32_e32 v2, 0
	s_waitcnt lgkmcnt(0)
	s_add_u32 s14, s0, 8
	s_addc_u32 s15, s1, 0
	s_mov_b64 s[16:17], 1
.LBB0_2:                                ; =>This Inner Loop Header: Depth=1
	s_load_dwordx2 s[18:19], s[14:15], 0x0
                                        ; implicit-def: $vgpr7_vgpr8
	s_waitcnt lgkmcnt(0)
	v_or_b32_e32 v4, s19, v6
	v_cmp_ne_u64_e32 vcc, 0, v[3:4]
	s_and_saveexec_b64 s[0:1], vcc
	s_xor_b64 s[20:21], exec, s[0:1]
	s_cbranch_execz .LBB0_4
; %bb.3:                                ;   in Loop: Header=BB0_2 Depth=1
	v_cvt_f32_u32_e32 v4, s18
	v_cvt_f32_u32_e32 v7, s19
	s_sub_u32 s0, 0, s18
	s_subb_u32 s1, 0, s19
	v_mac_f32_e32 v4, 0x4f800000, v7
	v_rcp_f32_e32 v4, v4
	v_mul_f32_e32 v4, 0x5f7ffffc, v4
	v_mul_f32_e32 v7, 0x2f800000, v4
	v_trunc_f32_e32 v7, v7
	v_mac_f32_e32 v4, 0xcf800000, v7
	v_cvt_u32_f32_e32 v7, v7
	v_cvt_u32_f32_e32 v4, v4
	v_mul_lo_u32 v8, s0, v7
	v_mul_hi_u32 v9, s0, v4
	v_mul_lo_u32 v11, s1, v4
	v_mul_lo_u32 v10, s0, v4
	v_add_u32_e32 v8, v9, v8
	v_add_u32_e32 v8, v8, v11
	v_mul_hi_u32 v9, v4, v10
	v_mul_lo_u32 v11, v4, v8
	v_mul_hi_u32 v13, v4, v8
	v_mul_hi_u32 v12, v7, v10
	v_mul_lo_u32 v10, v7, v10
	v_mul_hi_u32 v14, v7, v8
	v_add_co_u32_e32 v9, vcc, v9, v11
	v_addc_co_u32_e32 v11, vcc, 0, v13, vcc
	v_mul_lo_u32 v8, v7, v8
	v_add_co_u32_e32 v9, vcc, v9, v10
	v_addc_co_u32_e32 v9, vcc, v11, v12, vcc
	v_addc_co_u32_e32 v10, vcc, 0, v14, vcc
	v_add_co_u32_e32 v8, vcc, v9, v8
	v_addc_co_u32_e32 v9, vcc, 0, v10, vcc
	v_add_co_u32_e32 v4, vcc, v4, v8
	v_addc_co_u32_e32 v7, vcc, v7, v9, vcc
	v_mul_lo_u32 v8, s0, v7
	v_mul_hi_u32 v9, s0, v4
	v_mul_lo_u32 v10, s1, v4
	v_mul_lo_u32 v11, s0, v4
	v_add_u32_e32 v8, v9, v8
	v_add_u32_e32 v8, v8, v10
	v_mul_lo_u32 v12, v4, v8
	v_mul_hi_u32 v13, v4, v11
	v_mul_hi_u32 v14, v4, v8
	;; [unrolled: 1-line block ×3, first 2 shown]
	v_mul_lo_u32 v11, v7, v11
	v_mul_hi_u32 v9, v7, v8
	v_add_co_u32_e32 v12, vcc, v13, v12
	v_addc_co_u32_e32 v13, vcc, 0, v14, vcc
	v_mul_lo_u32 v8, v7, v8
	v_add_co_u32_e32 v11, vcc, v12, v11
	v_addc_co_u32_e32 v10, vcc, v13, v10, vcc
	v_addc_co_u32_e32 v9, vcc, 0, v9, vcc
	v_add_co_u32_e32 v8, vcc, v10, v8
	v_addc_co_u32_e32 v9, vcc, 0, v9, vcc
	v_add_co_u32_e32 v4, vcc, v4, v8
	v_addc_co_u32_e32 v9, vcc, v7, v9, vcc
	v_mad_u64_u32 v[7:8], s[0:1], v5, v9, 0
	v_mul_hi_u32 v10, v5, v4
	v_add_co_u32_e32 v11, vcc, v10, v7
	v_addc_co_u32_e32 v12, vcc, 0, v8, vcc
	v_mad_u64_u32 v[7:8], s[0:1], v6, v4, 0
	v_mad_u64_u32 v[9:10], s[0:1], v6, v9, 0
	v_add_co_u32_e32 v4, vcc, v11, v7
	v_addc_co_u32_e32 v4, vcc, v12, v8, vcc
	v_addc_co_u32_e32 v7, vcc, 0, v10, vcc
	v_add_co_u32_e32 v4, vcc, v4, v9
	v_addc_co_u32_e32 v9, vcc, 0, v7, vcc
	v_mul_lo_u32 v10, s19, v4
	v_mul_lo_u32 v11, s18, v9
	v_mad_u64_u32 v[7:8], s[0:1], s18, v4, 0
	v_add3_u32 v8, v8, v11, v10
	v_sub_u32_e32 v10, v6, v8
	v_mov_b32_e32 v11, s19
	v_sub_co_u32_e32 v7, vcc, v5, v7
	v_subb_co_u32_e64 v10, s[0:1], v10, v11, vcc
	v_subrev_co_u32_e64 v11, s[0:1], s18, v7
	v_subbrev_co_u32_e64 v10, s[0:1], 0, v10, s[0:1]
	v_cmp_le_u32_e64 s[0:1], s19, v10
	v_cndmask_b32_e64 v12, 0, -1, s[0:1]
	v_cmp_le_u32_e64 s[0:1], s18, v11
	v_cndmask_b32_e64 v11, 0, -1, s[0:1]
	v_cmp_eq_u32_e64 s[0:1], s19, v10
	v_cndmask_b32_e64 v10, v12, v11, s[0:1]
	v_add_co_u32_e64 v11, s[0:1], 2, v4
	v_addc_co_u32_e64 v12, s[0:1], 0, v9, s[0:1]
	v_add_co_u32_e64 v13, s[0:1], 1, v4
	v_addc_co_u32_e64 v14, s[0:1], 0, v9, s[0:1]
	v_subb_co_u32_e32 v8, vcc, v6, v8, vcc
	v_cmp_ne_u32_e64 s[0:1], 0, v10
	v_cmp_le_u32_e32 vcc, s19, v8
	v_cndmask_b32_e64 v10, v14, v12, s[0:1]
	v_cndmask_b32_e64 v12, 0, -1, vcc
	v_cmp_le_u32_e32 vcc, s18, v7
	v_cndmask_b32_e64 v7, 0, -1, vcc
	v_cmp_eq_u32_e32 vcc, s19, v8
	v_cndmask_b32_e32 v7, v12, v7, vcc
	v_cmp_ne_u32_e32 vcc, 0, v7
	v_cndmask_b32_e64 v7, v13, v11, s[0:1]
	v_cndmask_b32_e32 v8, v9, v10, vcc
	v_cndmask_b32_e32 v7, v4, v7, vcc
.LBB0_4:                                ;   in Loop: Header=BB0_2 Depth=1
	s_andn2_saveexec_b64 s[0:1], s[20:21]
	s_cbranch_execz .LBB0_6
; %bb.5:                                ;   in Loop: Header=BB0_2 Depth=1
	v_cvt_f32_u32_e32 v4, s18
	s_sub_i32 s20, 0, s18
	v_rcp_iflag_f32_e32 v4, v4
	v_mul_f32_e32 v4, 0x4f7ffffe, v4
	v_cvt_u32_f32_e32 v4, v4
	v_mul_lo_u32 v7, s20, v4
	v_mul_hi_u32 v7, v4, v7
	v_add_u32_e32 v4, v4, v7
	v_mul_hi_u32 v4, v5, v4
	v_mul_lo_u32 v7, v4, s18
	v_add_u32_e32 v8, 1, v4
	v_sub_u32_e32 v7, v5, v7
	v_subrev_u32_e32 v9, s18, v7
	v_cmp_le_u32_e32 vcc, s18, v7
	v_cndmask_b32_e32 v7, v7, v9, vcc
	v_cndmask_b32_e32 v4, v4, v8, vcc
	v_add_u32_e32 v8, 1, v4
	v_cmp_le_u32_e32 vcc, s18, v7
	v_cndmask_b32_e32 v7, v4, v8, vcc
	v_mov_b32_e32 v8, v3
.LBB0_6:                                ;   in Loop: Header=BB0_2 Depth=1
	s_or_b64 exec, exec, s[0:1]
	v_mul_lo_u32 v4, v8, s18
	v_mul_lo_u32 v11, v7, s19
	v_mad_u64_u32 v[9:10], s[0:1], v7, s18, 0
	s_load_dwordx2 s[0:1], s[6:7], 0x0
	s_add_u32 s16, s16, 1
	v_add3_u32 v4, v10, v11, v4
	v_sub_co_u32_e32 v5, vcc, v5, v9
	v_subb_co_u32_e32 v4, vcc, v6, v4, vcc
	s_waitcnt lgkmcnt(0)
	v_mul_lo_u32 v4, s0, v4
	v_mul_lo_u32 v6, s1, v5
	v_mad_u64_u32 v[1:2], s[0:1], s0, v5, v[1:2]
	s_addc_u32 s17, s17, 0
	s_add_u32 s6, s6, 8
	v_add3_u32 v2, v6, v2, v4
	v_mov_b32_e32 v4, s10
	v_mov_b32_e32 v5, s11
	s_addc_u32 s7, s7, 0
	v_cmp_ge_u64_e32 vcc, s[16:17], v[4:5]
	s_add_u32 s14, s14, 8
	s_addc_u32 s15, s15, 0
	s_cbranch_vccnz .LBB0_9
; %bb.7:                                ;   in Loop: Header=BB0_2 Depth=1
	v_mov_b32_e32 v5, v7
	v_mov_b32_e32 v6, v8
	s_branch .LBB0_2
.LBB0_8:
	v_mov_b32_e32 v8, v6
	v_mov_b32_e32 v7, v5
.LBB0_9:
	s_lshl_b64 s[0:1], s[10:11], 3
	s_add_u32 s0, s2, s0
	s_addc_u32 s1, s3, s1
	s_load_dwordx2 s[2:3], s[0:1], 0x0
	s_load_dwordx2 s[6:7], s[4:5], 0x20
                                        ; implicit-def: $vgpr6
	s_waitcnt lgkmcnt(0)
	v_mad_u64_u32 v[1:2], s[0:1], s2, v7, v[1:2]
	s_mov_b32 s0, 0x2d82d83
	v_mul_lo_u32 v3, s2, v8
	v_mul_lo_u32 v4, s3, v7
	v_mul_hi_u32 v5, v0, s0
	v_cmp_gt_u64_e64 s[0:1], s[6:7], v[7:8]
	v_cmp_le_u64_e32 vcc, s[6:7], v[7:8]
	v_add3_u32 v2, v4, v2, v3
	v_mul_u32_u24_e32 v3, 0x5a, v5
	v_sub_u32_e32 v0, v0, v3
                                        ; implicit-def: $vgpr4
	s_and_saveexec_b64 s[2:3], vcc
	s_xor_b64 s[2:3], exec, s[2:3]
; %bb.10:
	v_add_u32_e32 v4, 0x5a, v0
	v_add_u32_e32 v6, 0xb4, v0
; %bb.11:
	s_or_saveexec_b64 s[2:3], s[2:3]
	v_lshlrev_b64 v[2:3], 2, v[1:2]
	v_lshl_add_u32 v29, v0, 2, 0
	s_xor_b64 exec, exec, s[2:3]
	s_cbranch_execz .LBB0_13
; %bb.12:
	v_mov_b32_e32 v1, 0
	v_mov_b32_e32 v4, s13
	v_add_co_u32_e32 v6, vcc, s12, v2
	v_addc_co_u32_e32 v7, vcc, v4, v3, vcc
	v_lshlrev_b64 v[4:5], 2, v[0:1]
	s_movk_i32 s4, 0x1000
	v_add_co_u32_e32 v4, vcc, v6, v4
	v_addc_co_u32_e32 v5, vcc, v7, v5, vcc
	v_add_co_u32_e32 v6, vcc, s4, v4
	v_addc_co_u32_e32 v7, vcc, 0, v5, vcc
	v_add_co_u32_e32 v8, vcc, 0x2000, v4
	global_load_dword v1, v[4:5], off
	global_load_dword v10, v[4:5], off offset:1080
	global_load_dword v11, v[4:5], off offset:1440
	;; [unrolled: 1-line block ×7, first 2 shown]
	v_addc_co_u32_e32 v9, vcc, 0, v5, vcc
	global_load_dword v17, v[4:5], off offset:2880
	global_load_dword v18, v[4:5], off offset:3240
	;; [unrolled: 1-line block ×15, first 2 shown]
                                        ; kill: killed $vgpr4 killed $vgpr5
                                        ; kill: killed $vgpr6 killed $vgpr7
	global_load_dword v5, v[8:9], off offset:88
	s_nop 0
	global_load_dword v7, v[8:9], off offset:448
	v_add_u32_e32 v8, 0x200, v29
	v_add_u32_e32 v4, 0x5a, v0
	;; [unrolled: 1-line block ×13, first 2 shown]
	s_waitcnt vmcnt(18)
	ds_write2_b32 v8, v15, v10 offset0:52 offset1:142
	ds_write2_b32 v9, v11, v12 offset0:104 offset1:194
	ds_write2_b32 v33, v13, v14 offset0:28 offset1:118
	s_waitcnt vmcnt(15)
	ds_write2_b32 v34, v17, v18 offset0:80 offset1:170
	s_waitcnt vmcnt(13)
	ds_write2_b32 v35, v19, v20 offset0:132 offset1:222
	ds_write2_b32 v29, v1, v16 offset1:90
	s_waitcnt vmcnt(11)
	ds_write2_b32 v36, v21, v22 offset0:56 offset1:146
	s_waitcnt vmcnt(9)
	ds_write2_b32 v37, v23, v24 offset0:108 offset1:198
	;; [unrolled: 2-line block ×6, first 2 shown]
	s_waitcnt vmcnt(0)
	ds_write_b32 v29, v7 offset:8640
.LBB0_13:
	s_or_b64 exec, exec, s[2:3]
	v_add_u32_e32 v5, 0x800, v29
	v_add_u32_e32 v31, 0x600, v29
	;; [unrolled: 1-line block ×3, first 2 shown]
	s_waitcnt lgkmcnt(0)
	s_barrier
	ds_read2_b32 v[7:8], v5 offset0:118 offset1:163
	v_add_u32_e32 v1, 0x1c00, v29
	ds_read2_b32 v[27:28], v31 offset0:66 offset1:156
	v_add_u32_e32 v30, 0xc00, v29
	ds_read2_b32 v[36:37], v32 offset0:70 offset1:160
	ds_read2_b32 v[38:39], v1 offset0:8 offset1:98
	;; [unrolled: 1-line block ×3, first 2 shown]
	v_add_u32_e32 v13, 0x1000, v29
	v_add_u32_e32 v9, 0x1600, v29
	ds_read2_b32 v[9:10], v9 offset0:122 offset1:167
	ds_read2_b32 v[11:12], v1 offset0:188 offset1:233
	s_waitcnt lgkmcnt(3)
	v_sub_f16_e32 v14, v38, v36
	s_waitcnt lgkmcnt(2)
	v_sub_f16_e32 v15, v27, v40
	v_add_f16_e32 v44, v15, v14
	ds_read2_b32 v[13:14], v13 offset0:56 offset1:101
	v_sub_f16_sdwa v15, v27, v40 dst_sel:DWORD dst_unused:UNUSED_PAD src0_sel:WORD_1 src1_sel:WORD_1
	v_sub_f16_sdwa v16, v38, v36 dst_sel:DWORD dst_unused:UNUSED_PAD src0_sel:WORD_1 src1_sel:WORD_1
	v_add_f16_e32 v45, v15, v16
	s_waitcnt lgkmcnt(1)
	v_sub_f16_e32 v15, v12, v10
	s_waitcnt lgkmcnt(0)
	v_sub_f16_e32 v16, v8, v14
	v_add_f16_e32 v46, v16, v15
	v_sub_f16_sdwa v15, v8, v14 dst_sel:DWORD dst_unused:UNUSED_PAD src0_sel:WORD_1 src1_sel:WORD_1
	v_sub_f16_sdwa v16, v12, v10 dst_sel:DWORD dst_unused:UNUSED_PAD src0_sel:WORD_1 src1_sel:WORD_1
	v_add_f16_e32 v47, v15, v16
	ds_read2_b32 v[15:16], v29 offset0:180 offset1:225
	v_add_f16_sdwa v18, v14, v10 dst_sel:DWORD dst_unused:UNUSED_PAD src0_sel:WORD_1 src1_sel:WORD_1
	s_movk_i32 s6, 0x3b9c
	v_add_f16_e32 v17, v14, v10
	v_sub_f16_e32 v53, v8, v12
	s_waitcnt lgkmcnt(0)
	v_lshrrev_b32_e32 v51, 16, v16
	v_fma_f16 v52, v18, -0.5, v51
	s_movk_i32 s5, 0x38b4
	s_mov_b32 s7, 0xbb9c
	v_fma_f16 v48, v17, -0.5, v16
	v_sub_f16_sdwa v49, v8, v12 dst_sel:DWORD dst_unused:UNUSED_PAD src0_sel:WORD_1 src1_sel:WORD_1
	v_fma_f16 v18, v53, s6, v52
	v_sub_f16_e32 v54, v14, v10
	s_movk_i32 s4, 0x34f2
	s_mov_b32 s10, 0xb8b4
	v_fma_f16 v17, v49, s7, v48
	v_sub_f16_sdwa v50, v14, v10 dst_sel:DWORD dst_unused:UNUSED_PAD src0_sel:WORD_1 src1_sel:WORD_1
	v_fma_f16 v18, v54, s5, v18
	ds_read2_b32 v[42:43], v29 offset1:90
	v_fma_f16 v17, v50, s10, v17
	v_fma_f16 v18, v47, s4, v18
	s_movk_i32 s2, 0x3a79
	v_fma_f16 v17, v46, s4, v17
	v_mul_f16_e32 v19, 0xb8b4, v18
	v_fma_f16 v55, v17, s2, v19
	v_mul_f16_e32 v17, 0x38b4, v17
	v_fma_f16 v56, v18, s2, v17
	v_add_f16_e32 v17, v40, v36
	s_waitcnt lgkmcnt(0)
	v_fma_f16 v57, v17, -0.5, v42
	v_sub_f16_sdwa v58, v27, v38 dst_sel:DWORD dst_unused:UNUSED_PAD src0_sel:WORD_1 src1_sel:WORD_1
	v_fma_f16 v17, v58, s7, v57
	v_sub_f16_sdwa v59, v40, v36 dst_sel:DWORD dst_unused:UNUSED_PAD src0_sel:WORD_1 src1_sel:WORD_1
	v_fma_f16 v17, v59, s10, v17
	v_fma_f16 v60, v44, s4, v17
	v_add_f16_sdwa v17, v40, v36 dst_sel:DWORD dst_unused:UNUSED_PAD src0_sel:WORD_1 src1_sel:WORD_1
	v_lshrrev_b32_e32 v61, 16, v42
	v_fma_f16 v62, v17, -0.5, v61
	v_sub_f16_e32 v63, v27, v38
	v_fma_f16 v17, v63, s6, v62
	v_sub_f16_e32 v64, v40, v36
	v_fma_f16 v17, v64, s5, v17
	v_fma_f16 v65, v45, s4, v17
	v_add_f16_e32 v17, v60, v55
	v_add_f16_e32 v18, v65, v56
	v_pack_b32_f16 v66, v17, v18
	v_pk_add_f16 v17, v42, v27
	v_pk_add_f16 v17, v17, v40
	;; [unrolled: 1-line block ×8, first 2 shown]
	v_add_u32_e32 v17, 0xa00, v29
	v_add_u32_e32 v19, 0x2000, v29
	v_mad_u32_u24 v69, v0, 36, v29
	v_pk_add_f16 v70, v67, v68
	v_add_u32_e32 v34, 0x400, v29
	ds_read2_b32 v[17:18], v17 offset0:125 offset1:215
	v_add_u32_e32 v33, 0x1200, v29
	v_add_u32_e32 v35, 0x1800, v29
	ds_read2_b32 v[21:22], v19 offset0:67 offset1:157
	ds_read2_b32 v[19:20], v34 offset0:59 offset1:149
	;; [unrolled: 1-line block ×4, first 2 shown]
	s_waitcnt lgkmcnt(0)
	s_barrier
	ds_write2_b32 v69, v70, v66 offset1:1
	v_sub_f16_e32 v66, v36, v38
	v_sub_f16_e32 v70, v40, v27
	v_add_f16_e32 v66, v70, v66
	v_add_f16_e32 v70, v27, v38
	v_fma_f16 v42, v70, -0.5, v42
	v_fma_f16 v70, v59, s6, v42
	v_fma_f16 v42, v59, s7, v42
	;; [unrolled: 1-line block ×6, first 2 shown]
	v_add_f16_sdwa v66, v27, v38 dst_sel:DWORD dst_unused:UNUSED_PAD src0_sel:WORD_1 src1_sel:WORD_1
	v_fma_f16 v61, v66, -0.5, v61
	v_sub_f16_sdwa v27, v40, v27 dst_sel:DWORD dst_unused:UNUSED_PAD src0_sel:WORD_1 src1_sel:WORD_1
	v_sub_f16_sdwa v36, v36, v38 dst_sel:DWORD dst_unused:UNUSED_PAD src0_sel:WORD_1 src1_sel:WORD_1
	v_add_f16_e32 v27, v27, v36
	v_fma_f16 v36, v64, s7, v61
	v_fma_f16 v38, v64, s6, v61
	;; [unrolled: 1-line block ×6, first 2 shown]
	v_sub_f16_e32 v38, v10, v12
	v_sub_f16_e32 v40, v14, v8
	v_add_f16_e32 v38, v40, v38
	v_add_f16_e32 v40, v8, v12
	v_fma_f16 v16, v40, -0.5, v16
	v_fma_f16 v40, v50, s6, v16
	v_fma_f16 v16, v50, s7, v16
	;; [unrolled: 1-line block ×6, first 2 shown]
	v_add_f16_sdwa v38, v8, v12 dst_sel:DWORD dst_unused:UNUSED_PAD src0_sel:WORD_1 src1_sel:WORD_1
	v_fma_f16 v38, v38, -0.5, v51
	v_sub_f16_sdwa v8, v14, v8 dst_sel:DWORD dst_unused:UNUSED_PAD src0_sel:WORD_1 src1_sel:WORD_1
	v_sub_f16_sdwa v10, v10, v12 dst_sel:DWORD dst_unused:UNUSED_PAD src0_sel:WORD_1 src1_sel:WORD_1
	v_add_f16_e32 v8, v8, v10
	v_fma_f16 v10, v54, s7, v38
	v_fma_f16 v12, v54, s6, v38
	;; [unrolled: 1-line block ×6, first 2 shown]
	s_mov_b32 s11, 0xb4f2
	v_mul_f16_e32 v14, 0xbb9c, v8
	v_mul_f16_e32 v8, 0xb4f2, v8
	;; [unrolled: 1-line block ×4, first 2 shown]
	v_fma_f16 v14, v16, s11, v14
	v_fma_f16 v8, v16, s6, v8
	;; [unrolled: 1-line block ×4, first 2 shown]
	v_add_f16_e32 v16, v42, v14
	v_add_f16_e32 v38, v27, v8
	v_pack_b32_f16 v16, v16, v38
	v_add_f16_e32 v38, v70, v12
	v_add_f16_e32 v40, v36, v10
	v_pack_b32_f16 v38, v38, v40
	ds_write2_b32 v69, v38, v16 offset0:2 offset1:3
	v_fma_f16 v16, v58, s6, v57
	v_fma_f16 v16, v59, s5, v16
	;; [unrolled: 1-line block ×12, first 2 shown]
	s_mov_b32 s3, 0xba79
	v_mul_f16_e32 v45, 0xb8b4, v44
	v_mul_f16_e32 v44, 0xba79, v44
	v_fma_f16 v45, v40, s3, v45
	v_fma_f16 v40, v40, s5, v44
	v_add_f16_e32 v46, v16, v45
	v_add_f16_e32 v47, v38, v40
	v_pk_add_f16 v44, v67, v68 neg_lo:[0,1] neg_hi:[0,1]
	v_pack_b32_f16 v46, v46, v47
	ds_write2_b32 v69, v46, v44 offset0:4 offset1:5
	v_sub_f16_e32 v44, v60, v55
	v_sub_f16_e32 v12, v70, v12
	v_sub_f16_e32 v46, v65, v56
	v_sub_f16_e32 v10, v36, v10
	v_pack_b32_f16 v10, v12, v10
	v_pack_b32_f16 v12, v44, v46
	ds_write2_b32 v69, v12, v10 offset0:6 offset1:7
	v_sub_f16_e32 v10, v42, v14
	v_sub_f16_e32 v12, v16, v45
	;; [unrolled: 1-line block ×4, first 2 shown]
	v_pack_b32_f16 v12, v12, v14
	v_pack_b32_f16 v8, v10, v8
	ds_write2_b32 v69, v8, v12 offset0:8 offset1:9
	v_pk_add_f16 v8, v43, v28
	v_pk_add_f16 v8, v8, v41
	v_add_f16_e32 v42, v28, v39
	v_pk_add_f16 v8, v8, v37
	v_add_f16_e32 v10, v41, v37
	v_sub_f16_sdwa v12, v41, v37 dst_sel:DWORD dst_unused:UNUSED_PAD src0_sel:WORD_1 src1_sel:WORD_1
	v_sub_f16_e32 v14, v28, v41
	v_sub_f16_e32 v16, v41, v28
	v_add_f16_sdwa v27, v41, v37 dst_sel:DWORD dst_unused:UNUSED_PAD src0_sel:WORD_1 src1_sel:WORD_1
	v_sub_f16_e32 v36, v41, v37
	v_sub_f16_sdwa v38, v28, v41 dst_sel:DWORD dst_unused:UNUSED_PAD src0_sel:WORD_1 src1_sel:WORD_1
	v_sub_f16_sdwa v40, v41, v28 dst_sel:DWORD dst_unused:UNUSED_PAD src0_sel:WORD_1 src1_sel:WORD_1
	;; [unrolled: 1-line block ×3, first 2 shown]
	v_sub_f16_e32 v44, v28, v39
	v_add_f16_sdwa v28, v28, v39 dst_sel:DWORD dst_unused:UNUSED_PAD src0_sel:WORD_1 src1_sel:WORD_1
	v_sub_f16_e32 v45, v39, v37
	v_sub_f16_e32 v46, v37, v39
	v_sub_f16_sdwa v47, v39, v37 dst_sel:DWORD dst_unused:UNUSED_PAD src0_sel:WORD_1 src1_sel:WORD_1
	v_sub_f16_sdwa v37, v37, v39 dst_sel:DWORD dst_unused:UNUSED_PAD src0_sel:WORD_1 src1_sel:WORD_1
	v_pk_add_f16 v8, v8, v39
	v_fma_f16 v39, v42, -0.5, v43
	v_lshrrev_b32_e32 v42, 16, v43
	v_add_f16_e32 v16, v16, v46
	v_fma_f16 v46, v12, s6, v39
	v_fma_f16 v39, v12, s7, v39
	v_fma_f16 v46, v41, s10, v46
	v_fma_f16 v39, v41, s5, v39
	v_fma_f16 v28, v28, -0.5, v42
	v_fma_f16 v46, v16, s4, v46
	v_fma_f16 v16, v16, s4, v39
	v_fma_f16 v39, v36, s7, v28
	v_fma_f16 v28, v36, s6, v28
	v_add_f16_e32 v14, v14, v45
	v_fma_f16 v10, v10, -0.5, v43
	v_sub_f16_e32 v43, v21, v25
	v_sub_f16_e32 v45, v17, v23
	v_add_f16_e32 v37, v40, v37
	v_fma_f16 v39, v44, s5, v39
	v_fma_f16 v28, v44, s10, v28
	v_add_f16_e32 v38, v38, v47
	v_add_f16_e32 v43, v45, v43
	v_sub_f16_sdwa v45, v17, v23 dst_sel:DWORD dst_unused:UNUSED_PAD src0_sel:WORD_1 src1_sel:WORD_1
	v_sub_f16_sdwa v47, v21, v25 dst_sel:DWORD dst_unused:UNUSED_PAD src0_sel:WORD_1 src1_sel:WORD_1
	v_fma_f16 v39, v37, s4, v39
	v_fma_f16 v28, v37, s4, v28
	v_sub_f16_e32 v37, v25, v21
	v_sub_f16_e32 v40, v23, v17
	v_add_f16_e32 v45, v45, v47
	v_add_f16_e32 v47, v23, v25
	v_add_f16_e32 v37, v40, v37
	v_add_f16_e32 v40, v17, v21
	v_fma_f16 v47, v47, -0.5, v19
	v_sub_f16_sdwa v50, v23, v25 dst_sel:DWORD dst_unused:UNUSED_PAD src0_sel:WORD_1 src1_sel:WORD_1
	v_add_f16_sdwa v51, v23, v25 dst_sel:DWORD dst_unused:UNUSED_PAD src0_sel:WORD_1 src1_sel:WORD_1
	v_lshrrev_b32_e32 v52, 16, v19
	v_pk_add_f16 v60, v19, v17
	v_fma_f16 v19, v40, -0.5, v19
	v_sub_f16_sdwa v48, v17, v21 dst_sel:DWORD dst_unused:UNUSED_PAD src0_sel:WORD_1 src1_sel:WORD_1
	v_fma_f16 v51, v51, -0.5, v52
	v_sub_f16_e32 v53, v17, v21
	v_fma_f16 v40, v50, s6, v19
	v_fma_f16 v19, v50, s7, v19
	;; [unrolled: 1-line block ×3, first 2 shown]
	v_sub_f16_e32 v55, v23, v25
	v_pk_add_f16 v60, v60, v23
	v_fma_f16 v40, v48, s10, v40
	v_fma_f16 v19, v48, s5, v19
	;; [unrolled: 1-line block ×4, first 2 shown]
	v_pk_add_f16 v60, v60, v25
	v_fma_f16 v40, v37, s4, v40
	v_fma_f16 v19, v37, s4, v19
	v_add_f16_sdwa v37, v17, v21 dst_sel:DWORD dst_unused:UNUSED_PAD src0_sel:WORD_1 src1_sel:WORD_1
	v_fma_f16 v49, v50, s10, v49
	v_fma_f16 v54, v45, s4, v54
	v_pk_add_f16 v60, v60, v21
	v_fma_f16 v37, v37, -0.5, v52
	v_sub_f16_sdwa v17, v23, v17 dst_sel:DWORD dst_unused:UNUSED_PAD src0_sel:WORD_1 src1_sel:WORD_1
	v_sub_f16_sdwa v21, v25, v21 dst_sel:DWORD dst_unused:UNUSED_PAD src0_sel:WORD_1 src1_sel:WORD_1
	v_fma_f16 v49, v43, s4, v49
	v_mul_f16_e32 v56, 0xb8b4, v54
	v_add_f16_e32 v17, v17, v21
	v_fma_f16 v21, v55, s7, v37
	v_fma_f16 v23, v55, s6, v37
	;; [unrolled: 1-line block ×3, first 2 shown]
	v_mul_f16_e32 v49, 0x38b4, v49
	v_fma_f16 v57, v27, -0.5, v42
	v_fma_f16 v21, v53, s5, v21
	v_fma_f16 v23, v53, s10, v23
	;; [unrolled: 1-line block ×9, first 2 shown]
	v_mul_f16_e32 v25, 0xbb9c, v17
	v_mul_f16_e32 v17, 0xb4f2, v17
	v_fma_f16 v54, v14, s4, v54
	v_fma_f16 v58, v38, s4, v27
	v_mul_f16_e32 v23, 0xbb9c, v21
	v_mul_f16_e32 v21, 0x34f2, v21
	v_fma_f16 v25, v19, s11, v25
	v_fma_f16 v17, v19, s6, v17
	v_add_f16_e32 v27, v54, v56
	v_add_f16_e32 v59, v58, v49
	v_fma_f16 v23, v40, s4, v23
	v_fma_f16 v21, v40, s6, v21
	v_add_f16_e32 v19, v16, v25
	v_add_f16_e32 v37, v28, v17
	v_pack_b32_f16 v59, v27, v59
	v_mul_i32_i24_e32 v27, 10, v4
	v_pack_b32_f16 v19, v19, v37
	v_add_f16_e32 v37, v46, v23
	v_add_f16_e32 v40, v39, v21
	v_lshl_add_u32 v27, v27, 2, 0
	v_pack_b32_f16 v37, v37, v40
	v_fma_f16 v10, v41, s6, v10
	ds_write2_b32 v27, v37, v19 offset0:2 offset1:3
	v_fma_f16 v10, v12, s5, v10
	v_fma_f16 v19, v53, s7, v51
	v_fma_f16 v10, v14, s4, v10
	v_fma_f16 v14, v48, s6, v47
	v_fma_f16 v19, v55, s10, v19
	v_fma_f16 v12, v44, s7, v57
	v_fma_f16 v14, v50, s5, v14
	v_fma_f16 v19, v45, s4, v19
	v_fma_f16 v12, v36, s10, v12
	v_fma_f16 v14, v43, s4, v14
	v_mul_f16_e32 v36, 0xb8b4, v19
	v_mul_f16_e32 v19, 0xba79, v19
	v_fma_f16 v12, v38, s4, v12
	v_fma_f16 v36, v14, s3, v36
	;; [unrolled: 1-line block ×3, first 2 shown]
	v_add_f16_e32 v19, v10, v36
	v_add_f16_e32 v37, v12, v14
	v_pk_add_f16 v61, v8, v60
	v_pk_add_f16 v8, v8, v60 neg_lo:[0,1] neg_hi:[0,1]
	v_pack_b32_f16 v19, v19, v37
	ds_write2_b32 v27, v19, v8 offset0:4 offset1:5
	v_sub_f16_e32 v8, v54, v56
	v_sub_f16_e32 v19, v46, v23
	;; [unrolled: 1-line block ×4, first 2 shown]
	v_pack_b32_f16 v19, v19, v21
	v_pack_b32_f16 v8, v8, v23
	ds_write2_b32 v27, v8, v19 offset0:6 offset1:7
	v_sub_f16_e32 v8, v16, v25
	v_sub_f16_e32 v10, v10, v36
	;; [unrolled: 1-line block ×4, first 2 shown]
	v_pack_b32_f16 v10, v10, v12
	v_pack_b32_f16 v8, v8, v16
	ds_write2_b32 v27, v8, v10 offset0:8 offset1:9
	v_pk_add_f16 v8, v7, v13 neg_lo:[0,1] neg_hi:[0,1]
	v_pk_add_f16 v10, v11, v9 neg_lo:[0,1] neg_hi:[0,1]
	v_pk_add_f16 v8, v8, v10
	v_pk_add_f16 v10, v13, v9
	v_pk_fma_f16 v12, v10, 0.5, v15 op_sel_hi:[1,0,1] neg_lo:[1,0,0] neg_hi:[1,0,0]
	v_pk_add_f16 v10, v7, v11 neg_lo:[0,1] neg_hi:[0,1]
	v_pk_mul_f16 v14, v10, s6 op_sel_hi:[1,0]
	v_pk_add_f16 v16, v12, v14 op_sel:[0,1] op_sel_hi:[1,0] neg_lo:[0,1] neg_hi:[0,1]
	v_pk_add_f16 v12, v12, v14 op_sel:[0,1] op_sel_hi:[1,0]
	v_pk_add_f16 v14, v13, v9 neg_lo:[0,1] neg_hi:[0,1]
	v_pk_mul_f16 v17, v14, s5 op_sel_hi:[1,0]
	v_pk_add_f16 v16, v16, v17 op_sel:[0,1] op_sel_hi:[1,0] neg_lo:[0,1] neg_hi:[0,1]
	v_pk_add_f16 v12, v17, v12 op_sel:[1,0] op_sel_hi:[0,1]
	v_pk_fma_f16 v16, v8, s4, v16 op_sel_hi:[1,0,1]
	v_pk_fma_f16 v8, v8, s4, v12 op_sel_hi:[1,0,1]
	v_pk_add_f16 v12, v24, v26
	v_pk_add_f16 v17, v18, v22 neg_lo:[0,1] neg_hi:[0,1]
	v_pk_fma_f16 v12, v12, 0.5, v20 op_sel_hi:[1,0,1] neg_lo:[1,0,0] neg_hi:[1,0,0]
	v_pk_mul_f16 v19, v17, s6 op_sel_hi:[1,0]
	v_pk_add_f16 v21, v12, v19 op_sel:[0,1] op_sel_hi:[1,0]
	v_pk_add_f16 v19, v24, v26 neg_lo:[0,1] neg_hi:[0,1]
	v_pk_mul_f16 v23, v19, s5 op_sel_hi:[1,0]
	v_pk_add_f16 v21, v23, v21 op_sel:[1,0] op_sel_hi:[0,1]
	v_pk_add_f16 v23, v18, v24 neg_lo:[0,1] neg_hi:[0,1]
	v_pk_add_f16 v25, v22, v26 neg_lo:[0,1] neg_hi:[0,1]
	v_pk_add_f16 v23, v23, v25
	v_pk_fma_f16 v12, v17, s6, v12 op_sel:[0,0,1] op_sel_hi:[1,0,0] neg_lo:[1,0,0] neg_hi:[1,0,0]
	v_pk_fma_f16 v25, v23, s4, v21 op_sel_hi:[1,0,1]
	v_pk_mul_f16 v21, v23, s4 op_sel_hi:[1,0]
	v_pk_fma_f16 v12, v19, s5, v12 op_sel_hi:[1,0,1] neg_lo:[1,0,0] neg_hi:[1,0,0]
	v_pk_add_f16 v23, v21, v12 op_sel:[1,0] op_sel_hi:[0,1]
	v_lshrrev_b32_e32 v12, 16, v23
	v_mul_f16_sdwa v21, v25, s10 dst_sel:DWORD dst_unused:UNUSED_PAD src0_sel:WORD_1 src1_sel:DWORD
	v_fma_f16 v21, v12, s2, v21
	s_mov_b32 s2, 0x3a79ba79
	v_pk_mul_f16 v28, v23, s5 op_sel_hi:[1,0]
	v_mul_f16_e32 v23, 0xba79, v23
	v_pk_fma_f16 v12, v25, s2, v28 neg_lo:[0,0,1] neg_hi:[0,0,1]
	v_pk_fma_f16 v28, v25, s2, v28
	v_fma_f16 v39, v25, s5, v23
	v_pk_add_f16 v23, v15, v7
	v_pk_add_f16 v25, v20, v18
	v_pk_add_f16 v23, v23, v13
	v_pk_add_f16 v25, v25, v24
	v_pk_add_f16 v23, v23, v9
	v_pk_add_f16 v25, v25, v26
	s_mov_b32 s14, 0xffff
	v_pk_add_f16 v23, v23, v11
	v_pk_add_f16 v25, v25, v22
	v_bfi_b32 v38, s14, v12, v28
	v_cmp_gt_u32_e32 vcc, 45, v0
	v_add_f16_sdwa v28, v16, v39 dst_sel:DWORD dst_unused:UNUSED_PAD src0_sel:WORD_1 src1_sel:DWORD
	v_sub_f16_e32 v36, v16, v21
	v_pk_add_f16 v37, v23, v25 neg_lo:[0,1] neg_hi:[0,1]
	v_pk_add_f16 v40, v8, v38
	v_pk_add_f16 v41, v8, v38 neg_lo:[0,1] neg_hi:[0,1]
	ds_write2_b32 v27, v61, v59 offset1:1
	s_and_saveexec_b64 s[2:3], vcc
	s_cbranch_execz .LBB0_15
; %bb.14:
	v_add_f16_e32 v42, v18, v22
	v_pk_add_f16 v24, v24, v18 neg_lo:[0,1] neg_hi:[0,1]
	v_fma_f16 v42, v42, -0.5, v20
	v_add_f16_sdwa v18, v18, v22 dst_sel:DWORD dst_unused:UNUSED_PAD src0_sel:WORD_1 src1_sel:WORD_1
	v_lshrrev_b32_e32 v20, 16, v20
	v_pk_add_f16 v26, v26, v22 neg_lo:[0,1] neg_hi:[0,1]
	v_fma_f16 v18, v18, -0.5, v20
	v_pk_add_f16 v24, v24, v26
	v_fma_f16 v20, v19, s6, v18
	v_bfi_b32 v26, s14, v24, v17
	v_lshrrev_b32_e32 v24, 16, v24
	v_fma_f16 v20, v17, s10, v20
	v_sub_f16_sdwa v39, v16, v39 dst_sel:DWORD dst_unused:UNUSED_PAD src0_sel:WORD_1 src1_sel:DWORD
	v_lshrrev_b32_e32 v43, 16, v19
	v_fma_f16 v20, v24, s4, v20
	v_fma_f16 v18, v19, s7, v18
	v_mul_i32_i24_e32 v19, 10, v6
	v_bfi_b32 v16, s14, v16, v8
	v_bfi_b32 v21, s14, v21, v38
	v_mul_f16_e32 v22, 0xb4f2, v20
	v_fma_f16 v17, v17, s5, v18
	v_mul_f16_e32 v18, 0xbb9c, v20
	v_lshl_add_u32 v19, v19, 2, 0
	v_pk_add_f16 v20, v23, v25
	v_pk_add_f16 v16, v16, v21
	ds_write2_b32 v19, v20, v16 offset1:1
	v_pk_add_f16 v16, v7, v11
	v_pk_fma_f16 v15, v16, -0.5, v15 op_sel_hi:[1,0,1]
	v_pk_mul_f16 v14, v14, s6 op_sel_hi:[1,0]
	s_mov_b32 s15, 0x38b434f2
	v_pk_add_f16 v16, v14, v15 op_sel:[1,0] op_sel_hi:[0,1]
	v_pk_mul_f16 v10, v10, s5 op_sel_hi:[1,0]
	v_pk_add_f16 v7, v13, v7 neg_lo:[0,1] neg_hi:[0,1]
	v_pk_add_f16 v13, v15, v14 op_sel:[0,1] op_sel_hi:[1,0] neg_lo:[0,1] neg_hi:[0,1]
	v_pk_mul_f16 v26, v26, s15
	v_fma_f16 v44, v43, s7, v42
	v_fma_f16 v42, v43, s6, v42
	v_pk_add_f16 v16, v16, v10 op_sel:[0,1] op_sel_hi:[1,0] neg_lo:[0,1] neg_hi:[0,1]
	v_pk_add_f16 v9, v9, v11 neg_lo:[0,1] neg_hi:[0,1]
	v_pk_add_f16 v10, v10, v13 op_sel:[1,0] op_sel_hi:[0,1]
	v_add_f16_sdwa v44, v26, v44 dst_sel:DWORD dst_unused:UNUSED_PAD src0_sel:WORD_1 src1_sel:DWORD
	v_sub_f16_sdwa v42, v42, v26 dst_sel:DWORD dst_unused:UNUSED_PAD src0_sel:DWORD src1_sel:WORD_1
	v_fma_f16 v17, v24, s4, v17
	v_pk_add_f16 v7, v7, v9
	v_bfi_b32 v13, s14, v16, v10
	s_mov_b32 s5, 0x34f23b9c
	v_add_f16_e32 v44, v26, v44
	v_add_f16_e32 v26, v26, v42
	v_pk_mul_f16 v9, v7, s4 op_sel_hi:[1,0]
	v_pk_fma_f16 v11, v7, s4, v16 op_sel_hi:[1,0,1]
	v_pk_fma_f16 v7, v7, s4, v13 op_sel_hi:[1,0,1]
	s_mov_b32 s4, 0x3b9c34f2
	v_pk_mul_f16 v13, v17, s5 op_sel_hi:[0,1]
	v_fma_f16 v22, v44, s6, v22
	v_fma_f16 v18, v44, s11, v18
	v_pk_fma_f16 v14, v26, s4, v13 neg_lo:[0,0,1] neg_hi:[0,0,1]
	v_pk_fma_f16 v13, v26, s4, v13 op_sel_hi:[0,1,1]
	v_add_f16_e32 v9, v9, v10
	v_bfi_b32 v13, s14, v14, v13
	v_sub_f16_e32 v10, v9, v18
	v_add_f16_sdwa v14, v11, v22 dst_sel:DWORD dst_unused:UNUSED_PAD src0_sel:WORD_1 src1_sel:DWORD
	v_add_f16_e32 v9, v9, v18
	v_pk_add_f16 v15, v7, v13
	v_pack_b32_f16 v9, v9, v14
	s_mov_b32 s4, 0x5040100
	ds_write2_b32 v19, v15, v9 offset0:2 offset1:3
	v_perm_b32 v9, v28, v40, s4
	ds_write2_b32 v19, v9, v37 offset0:4 offset1:5
	v_pk_add_f16 v7, v7, v13 neg_lo:[0,1] neg_hi:[0,1]
	v_bfi_b32 v9, s14, v36, v41
	ds_write2_b32 v19, v9, v7 offset0:6 offset1:7
	v_alignbit_b32 v7, v8, v11, 16
	v_perm_b32 v8, v12, v22, s4
	v_pk_add_f16 v7, v7, v8 neg_lo:[0,1] neg_hi:[0,1]
	v_pack_b32_f16 v8, v10, v7
	v_alignbit_b32 v7, v39, v7, 16
	ds_write2_b32 v19, v8, v7 offset0:8 offset1:9
.LBB0_15:
	s_or_b64 exec, exec, s[2:3]
	s_movk_i32 s2, 0xffdc
	s_waitcnt lgkmcnt(0)
	s_barrier
	ds_read2_b32 v[7:8], v5 offset0:118 offset1:238
	ds_read2_b32 v[13:14], v32 offset0:100 offset1:220
	v_mad_i32_i24 v5, v4, s2, v27
	ds_read2_b32 v[19:20], v30 offset0:72 offset1:162
	ds_read2_b32 v[21:22], v35 offset0:54 offset1:144
	v_lshl_add_u32 v30, v6, 2, 0
	ds_read_b32 v57, v29 offset:8520
	ds_read_b32 v56, v29
	ds_read_b32 v39, v5
	;; [unrolled: 1-line block ×3, first 2 shown]
	ds_read2_b32 v[11:12], v34 offset0:14 offset1:104
	v_add_u32_e32 v5, 0xe00, v29
	ds_read2_b32 v[25:26], v5 offset0:124 offset1:214
	v_add_u32_e32 v5, 0x1a00, v29
	ds_read2_b32 v[23:24], v5 offset0:106 offset1:196
	ds_read2_b32 v[9:10], v31 offset0:66 offset1:156
	;; [unrolled: 1-line block ×4, first 2 shown]
	v_bfi_b32 v31, s14, v40, v41
	v_cmp_gt_u32_e64 s[2:3], 30, v0
	s_and_saveexec_b64 s[4:5], s[2:3]
	s_cbranch_execz .LBB0_17
; %bb.16:
	ds_read_b32 v1, v29 offset:2880
	ds_read_b32 v36, v29 offset:8880
	;; [unrolled: 1-line block ×3, first 2 shown]
	s_mov_b32 s6, 0xffff
	s_waitcnt lgkmcnt(2)
	v_lshrrev_b32_e32 v28, 16, v1
	s_waitcnt lgkmcnt(1)
	v_bfi_b32 v31, s6, v1, v36
.LBB0_17:
	s_or_b64 exec, exec, s[4:5]
	s_movk_i32 s4, 0xcd
	s_mov_b32 s5, 0xcccd
	v_mul_lo_u16_sdwa v1, v4, s4 dst_sel:DWORD dst_unused:UNUSED_PAD src0_sel:BYTE_0 src1_sel:DWORD
	v_mul_u32_u24_sdwa v5, v6, s5 dst_sel:DWORD dst_unused:UNUSED_PAD src0_sel:WORD_0 src1_sel:DWORD
	v_lshrrev_b16_e32 v50, 11, v1
	v_lshrrev_b32_e32 v40, 19, v5
	v_mul_lo_u16_e32 v1, 10, v50
	v_mul_lo_u16_e32 v5, 10, v40
	v_mov_b32_e32 v32, 3
	v_sub_u16_e32 v51, v4, v1
	v_sub_u16_e32 v41, v6, v5
	v_lshlrev_b32_sdwa v1, v32, v51 dst_sel:DWORD dst_unused:UNUSED_PAD src0_sel:DWORD src1_sel:BYTE_0
	v_lshlrev_b32_e32 v33, 3, v41
	v_add_u32_e32 v5, 0x10e, v0
	global_load_dwordx2 v[58:59], v1, s[8:9]
	global_load_dwordx2 v[60:61], v33, s[8:9]
	v_mul_u32_u24_sdwa v1, v5, s5 dst_sel:DWORD dst_unused:UNUSED_PAD src0_sel:WORD_0 src1_sel:DWORD
	v_lshrrev_b32_e32 v42, 19, v1
	v_mul_lo_u16_e32 v1, 10, v42
	v_sub_u16_e32 v43, v5, v1
	v_lshlrev_b32_e32 v1, 3, v43
	global_load_dwordx2 v[62:63], v1, s[8:9]
	v_add_u32_e32 v1, 0x168, v0
	v_mul_u32_u24_sdwa v33, v1, s5 dst_sel:DWORD dst_unused:UNUSED_PAD src0_sel:WORD_0 src1_sel:DWORD
	v_lshrrev_b32_e32 v44, 19, v33
	v_mul_lo_u16_e32 v33, 10, v44
	v_sub_u16_e32 v45, v1, v33
	v_lshlrev_b32_e32 v33, 3, v45
	global_load_dwordx2 v[64:65], v33, s[8:9]
	v_add_u32_e32 v33, 0x1c2, v0
	;; [unrolled: 7-line block ×3, first 2 shown]
	v_mul_u32_u24_sdwa v35, v34, s5 dst_sel:DWORD dst_unused:UNUSED_PAD src0_sel:WORD_0 src1_sel:DWORD
	v_lshrrev_b32_e32 v48, 19, v35
	v_mul_lo_u16_e32 v35, 10, v48
	v_sub_u16_e32 v49, v34, v35
	v_lshlrev_b32_e32 v35, 3, v49
	global_load_dwordx2 v[68:69], v35, s[8:9]
	v_mul_lo_u16_sdwa v35, v0, s4 dst_sel:DWORD dst_unused:UNUSED_PAD src0_sel:BYTE_0 src1_sel:DWORD
	v_lshrrev_b16_e32 v76, 11, v35
	v_mul_lo_u16_e32 v35, 10, v76
	v_sub_u16_e32 v77, v0, v35
	v_lshlrev_b32_sdwa v32, v32, v77 dst_sel:DWORD dst_unused:UNUSED_PAD src0_sel:DWORD src1_sel:BYTE_0
	v_add_u32_e32 v35, 0x276, v0
	global_load_dwordx2 v[70:71], v32, s[8:9]
	v_mul_u32_u24_sdwa v32, v35, s5 dst_sel:DWORD dst_unused:UNUSED_PAD src0_sel:WORD_0 src1_sel:DWORD
	v_lshrrev_b32_e32 v54, 19, v32
	v_mul_lo_u16_e32 v32, 10, v54
	v_sub_u16_e32 v55, v35, v32
	v_lshlrev_b32_e32 v32, 3, v55
	global_load_dwordx2 v[72:73], v32, s[8:9]
	v_add_u32_e32 v32, 0x2d0, v0
	v_mul_u32_u24_sdwa v52, v32, s5 dst_sel:DWORD dst_unused:UNUSED_PAD src0_sel:WORD_0 src1_sel:DWORD
	v_lshrrev_b32_e32 v52, 19, v52
	v_mul_lo_u16_e32 v53, 10, v52
	v_sub_u16_e32 v53, v32, v53
	v_lshlrev_b32_e32 v74, 3, v53
	global_load_dwordx2 v[74:75], v74, s[8:9]
	s_waitcnt lgkmcnt(11)
	v_lshrrev_b32_e32 v78, 16, v19
	v_lshrrev_b32_e32 v80, 16, v20
	s_waitcnt lgkmcnt(4)
	v_lshrrev_b32_e32 v83, 16, v25
	v_lshrrev_b32_e32 v79, 16, v21
	;; [unrolled: 1-line block ×3, first 2 shown]
	s_waitcnt lgkmcnt(3)
	v_lshrrev_b32_e32 v82, 16, v23
	s_mov_b32 s4, 0xbaee
	s_movk_i32 s5, 0x3aee
	s_waitcnt vmcnt(0) lgkmcnt(0)
	s_barrier
	v_mul_f16_sdwa v84, v58, v78 dst_sel:DWORD dst_unused:UNUSED_PAD src0_sel:WORD_1 src1_sel:DWORD
	v_mul_f16_sdwa v85, v58, v19 dst_sel:DWORD dst_unused:UNUSED_PAD src0_sel:WORD_1 src1_sel:DWORD
	;; [unrolled: 1-line block ×10, first 2 shown]
	v_fma_f16 v78, v58, v78, -v85
	v_fma_f16 v19, v58, v19, v84
	v_fma_f16 v20, v60, v20, v88
	v_fma_f16 v58, v60, v80, -v89
	v_fma_f16 v25, v62, v25, v92
	v_fma_f16 v60, v62, v83, -v93
	v_mul_f16_sdwa v62, v82, v63 dst_sel:DWORD dst_unused:UNUSED_PAD src0_sel:DWORD src1_sel:WORD_1
	v_fma_f16 v79, v59, v79, -v86
	v_fma_f16 v21, v59, v21, v87
	v_fma_f16 v22, v61, v22, v90
	v_fma_f16 v59, v61, v81, -v91
	v_mul_f16_sdwa v61, v23, v63 dst_sel:DWORD dst_unused:UNUSED_PAD src0_sel:DWORD src1_sel:WORD_1
	v_fma_f16 v23, v23, v63, v62
	v_lshrrev_b32_e32 v62, 16, v26
	v_fma_f16 v61, v82, v63, -v61
	v_mul_f16_sdwa v63, v62, v64 dst_sel:DWORD dst_unused:UNUSED_PAD src0_sel:DWORD src1_sel:WORD_1
	v_fma_f16 v63, v26, v64, v63
	v_mul_f16_sdwa v26, v26, v64 dst_sel:DWORD dst_unused:UNUSED_PAD src0_sel:DWORD src1_sel:WORD_1
	v_lshrrev_b32_e32 v80, 16, v24
	v_fma_f16 v26, v62, v64, -v26
	v_mul_f16_sdwa v62, v80, v65 dst_sel:DWORD dst_unused:UNUSED_PAD src0_sel:DWORD src1_sel:WORD_1
	v_fma_f16 v62, v24, v65, v62
	v_mul_f16_sdwa v24, v24, v65 dst_sel:DWORD dst_unused:UNUSED_PAD src0_sel:DWORD src1_sel:WORD_1
	;; [unrolled: 5-line block ×3, first 2 shown]
	v_lshrrev_b32_e32 v65, 16, v15
	v_fma_f16 v17, v64, v66, -v17
	v_mul_f16_sdwa v64, v15, v67 dst_sel:DWORD dst_unused:UNUSED_PAD src0_sel:DWORD src1_sel:WORD_1
	v_fma_f16 v64, v65, v67, -v64
	v_mul_f16_sdwa v65, v65, v67 dst_sel:DWORD dst_unused:UNUSED_PAD src0_sel:DWORD src1_sel:WORD_1
	v_fma_f16 v65, v15, v67, v65
	v_lshrrev_b32_e32 v15, 16, v18
	v_mul_f16_sdwa v66, v15, v68 dst_sel:DWORD dst_unused:UNUSED_PAD src0_sel:DWORD src1_sel:WORD_1
	v_fma_f16 v66, v18, v68, v66
	v_mul_f16_sdwa v18, v18, v68 dst_sel:DWORD dst_unused:UNUSED_PAD src0_sel:DWORD src1_sel:WORD_1
	v_lshrrev_b32_e32 v67, 16, v16
	v_fma_f16 v18, v15, v68, -v18
	v_mul_f16_sdwa v15, v67, v69 dst_sel:DWORD dst_unused:UNUSED_PAD src0_sel:DWORD src1_sel:WORD_1
	v_fma_f16 v68, v16, v69, v15
	v_mul_f16_sdwa v15, v16, v69 dst_sel:DWORD dst_unused:UNUSED_PAD src0_sel:DWORD src1_sel:WORD_1
	v_lshrrev_b32_e32 v16, 16, v8
	v_fma_f16 v67, v67, v69, -v15
	v_mul_f16_sdwa v69, v70, v16 dst_sel:DWORD dst_unused:UNUSED_PAD src0_sel:WORD_1 src1_sel:DWORD
	v_fma_f16 v69, v70, v8, v69
	v_mul_f16_sdwa v8, v70, v8 dst_sel:DWORD dst_unused:UNUSED_PAD src0_sel:WORD_1 src1_sel:DWORD
	v_lshrrev_b32_e32 v15, 16, v14
	v_fma_f16 v16, v70, v16, -v8
	v_mul_f16_sdwa v8, v71, v14 dst_sel:DWORD dst_unused:UNUSED_PAD src0_sel:WORD_1 src1_sel:DWORD
	v_fma_f16 v70, v71, v15, -v8
	v_mul_f16_sdwa v8, v71, v15 dst_sel:DWORD dst_unused:UNUSED_PAD src0_sel:WORD_1 src1_sel:DWORD
	v_fma_f16 v71, v71, v14, v8
	v_lshrrev_b32_e32 v8, 16, v13
	v_mul_f16_sdwa v14, v8, v72 dst_sel:DWORD dst_unused:UNUSED_PAD src0_sel:DWORD src1_sel:WORD_1
	v_fma_f16 v81, v13, v72, v14
	v_mul_f16_sdwa v13, v13, v72 dst_sel:DWORD dst_unused:UNUSED_PAD src0_sel:DWORD src1_sel:WORD_1
	v_lshrrev_b32_e32 v14, 16, v57
	v_fma_f16 v72, v8, v72, -v13
	v_mul_f16_sdwa v8, v14, v73 dst_sel:DWORD dst_unused:UNUSED_PAD src0_sel:DWORD src1_sel:WORD_1
	v_fma_f16 v82, v57, v73, v8
	v_mul_f16_sdwa v8, v57, v73 dst_sel:DWORD dst_unused:UNUSED_PAD src0_sel:DWORD src1_sel:WORD_1
	v_fma_f16 v57, v14, v73, -v8
	v_lshrrev_b32_e32 v13, 16, v37
	v_mul_f16_sdwa v14, v37, v74 dst_sel:DWORD dst_unused:UNUSED_PAD src0_sel:DWORD src1_sel:WORD_1
	v_lshrrev_b32_e32 v15, 16, v31
	v_mul_f16_sdwa v8, v13, v74 dst_sel:DWORD dst_unused:UNUSED_PAD src0_sel:DWORD src1_sel:WORD_1
	v_fma_f16 v13, v13, v74, -v14
	v_mul_f16_sdwa v14, v15, v75 dst_sel:DWORD dst_unused:UNUSED_PAD src0_sel:DWORD src1_sel:WORD_1
	v_fma_f16 v14, v36, v75, v14
	v_mul_f16_sdwa v36, v36, v75 dst_sel:DWORD dst_unused:UNUSED_PAD src0_sel:DWORD src1_sel:WORD_1
	v_fma_f16 v15, v15, v75, -v36
	v_add_f16_e32 v36, v69, v71
	v_fma_f16 v8, v37, v74, v8
	v_fma_f16 v36, v36, -0.5, v56
	v_sub_f16_e32 v37, v16, v70
	v_fma_f16 v73, v37, s4, v36
	v_fma_f16 v36, v37, s5, v36
	v_lshrrev_b32_e32 v37, 16, v56
	v_add_f16_e32 v74, v37, v16
	v_add_f16_e32 v16, v16, v70
	v_fma_f16 v16, v16, -0.5, v37
	v_sub_f16_e32 v37, v69, v71
	v_add_f16_e32 v56, v56, v69
	v_fma_f16 v69, v37, s5, v16
	v_fma_f16 v16, v37, s4, v16
	v_add_f16_e32 v37, v19, v21
	v_add_f16_e32 v74, v74, v70
	v_fma_f16 v37, v37, -0.5, v39
	v_sub_f16_e32 v70, v78, v79
	v_add_f16_e32 v56, v56, v71
	v_fma_f16 v71, v70, s4, v37
	v_fma_f16 v70, v70, s5, v37
	v_lshrrev_b32_e32 v37, 16, v39
	v_add_f16_e32 v75, v37, v78
	v_add_f16_e32 v78, v78, v79
	v_add_f16_e32 v39, v39, v19
	v_fma_f16 v37, v78, -0.5, v37
	v_add_f16_e32 v78, v39, v21
	v_sub_f16_e32 v19, v19, v21
	v_add_f16_e32 v21, v20, v22
	v_add_f16_e32 v75, v75, v79
	v_fma_f16 v79, v19, s5, v37
	v_fma_f16 v19, v19, s4, v37
	v_fma_f16 v21, v21, -0.5, v38
	v_sub_f16_e32 v37, v58, v59
	v_fma_f16 v83, v37, s4, v21
	v_fma_f16 v84, v37, s5, v21
	v_lshrrev_b32_e32 v21, 16, v38
	v_add_f16_e32 v37, v21, v58
	v_add_f16_e32 v85, v37, v59
	;; [unrolled: 1-line block ×3, first 2 shown]
	v_fma_f16 v21, v37, -0.5, v21
	v_add_f16_e32 v37, v38, v20
	v_sub_f16_e32 v20, v20, v22
	v_add_f16_e32 v58, v37, v22
	v_fma_f16 v22, v20, s5, v21
	v_fma_f16 v20, v20, s4, v21
	v_add_f16_e32 v21, v25, v23
	v_fma_f16 v21, v21, -0.5, v11
	v_sub_f16_e32 v37, v60, v61
	v_fma_f16 v59, v37, s4, v21
	v_fma_f16 v86, v37, s5, v21
	v_lshrrev_b32_e32 v21, 16, v11
	v_add_f16_e32 v37, v21, v60
	v_add_f16_e32 v87, v37, v61
	;; [unrolled: 1-line block ×4, first 2 shown]
	v_fma_f16 v21, v37, -0.5, v21
	v_add_f16_e32 v11, v11, v23
	v_sub_f16_e32 v23, v25, v23
	v_fma_f16 v25, v23, s5, v21
	v_fma_f16 v23, v23, s4, v21
	v_add_f16_e32 v21, v63, v62
	v_fma_f16 v21, v21, -0.5, v12
	v_lshrrev_b32_e32 v37, 16, v12
	v_sub_f16_e32 v38, v26, v24
	v_fma_f16 v60, v38, s4, v21
	v_fma_f16 v61, v38, s5, v21
	v_add_f16_e32 v21, v37, v26
	v_add_f16_e32 v88, v21, v24
	;; [unrolled: 1-line block ×3, first 2 shown]
	v_fma_f16 v21, v21, -0.5, v37
	v_sub_f16_e32 v24, v63, v62
	v_fma_f16 v26, v24, s5, v21
	v_fma_f16 v24, v24, s4, v21
	v_mov_b32_e32 v21, 2
	v_mul_u32_u24_e32 v37, 0x78, v76
	v_lshlrev_b32_sdwa v38, v21, v77 dst_sel:DWORD dst_unused:UNUSED_PAD src0_sel:DWORD src1_sel:BYTE_0
	v_add3_u32 v37, 0, v37, v38
	v_pack_b32_f16 v38, v56, v74
	v_pack_b32_f16 v39, v73, v69
	ds_write2_b32 v37, v38, v39 offset1:10
	v_add_f16_e32 v38, v80, v65
	v_add_f16_e32 v12, v12, v63
	v_fma_f16 v38, v38, -0.5, v9
	v_sub_f16_e32 v39, v17, v64
	v_add_f16_e32 v12, v12, v62
	v_fma_f16 v56, v39, s4, v38
	v_fma_f16 v62, v39, s5, v38
	v_lshrrev_b32_e32 v38, 16, v9
	v_add_f16_e32 v39, v38, v17
	v_add_f16_e32 v17, v17, v64
	v_fma_f16 v17, v17, -0.5, v38
	v_sub_f16_e32 v38, v80, v65
	v_add_f16_e32 v63, v39, v64
	v_add_f16_e32 v9, v9, v80
	v_fma_f16 v64, v38, s5, v17
	v_fma_f16 v17, v38, s4, v17
	v_add_f16_e32 v38, v66, v68
	v_add_f16_e32 v9, v9, v65
	v_fma_f16 v38, v38, -0.5, v10
	v_lshrrev_b32_e32 v39, 16, v10
	v_sub_f16_e32 v65, v18, v67
	v_fma_f16 v69, v65, s4, v38
	v_fma_f16 v65, v65, s5, v38
	v_add_f16_e32 v38, v39, v18
	v_add_f16_e32 v18, v18, v67
	;; [unrolled: 1-line block ×3, first 2 shown]
	v_fma_f16 v18, v18, -0.5, v39
	v_sub_f16_e32 v38, v66, v68
	v_add_f16_e32 v10, v10, v66
	v_fma_f16 v66, v38, s5, v18
	v_fma_f16 v18, v38, s4, v18
	v_add_f16_e32 v38, v81, v82
	v_fma_f16 v38, v38, -0.5, v7
	v_lshrrev_b32_e32 v39, 16, v7
	v_sub_f16_e32 v67, v72, v57
	v_add_f16_e32 v10, v10, v68
	v_fma_f16 v68, v67, s4, v38
	v_fma_f16 v67, v67, s5, v38
	v_add_f16_e32 v38, v39, v72
	v_add_f16_e32 v7, v7, v81
	;; [unrolled: 1-line block ×4, first 2 shown]
	v_fma_f16 v38, v38, -0.5, v39
	v_add_f16_e32 v57, v7, v82
	v_sub_f16_e32 v7, v81, v82
	v_fma_f16 v72, v7, s5, v38
	v_fma_f16 v76, v7, s4, v38
	v_pack_b32_f16 v7, v36, v16
	v_add_f16_e32 v16, v8, v14
	v_fma_f16 v16, v16, -0.5, v31
	ds_write_b32 v37, v7 offset:80
	v_sub_f16_e32 v7, v13, v15
	v_fma_f16 v36, v7, s4, v16
	v_fma_f16 v37, v7, s5, v16
	v_add_f16_e32 v7, v13, v15
	v_fma_f16 v7, v7, -0.5, v28
	v_sub_f16_e32 v16, v8, v14
	v_fma_f16 v38, v16, s5, v7
	v_fma_f16 v39, v16, s4, v7
	v_mul_u32_u24_e32 v7, 0x78, v50
	v_lshlrev_b32_sdwa v16, v21, v51 dst_sel:DWORD dst_unused:UNUSED_PAD src0_sel:DWORD src1_sel:BYTE_0
	v_add3_u32 v16, 0, v7, v16
	v_pack_b32_f16 v50, v78, v75
	v_pack_b32_f16 v51, v71, v79
	;; [unrolled: 1-line block ×3, first 2 shown]
	ds_write2_b32 v16, v50, v51 offset1:10
	ds_write_b32 v16, v19 offset:80
	v_mul_u32_u24_e32 v16, 0x78, v40
	v_lshlrev_b32_e32 v19, 2, v41
	v_add3_u32 v16, 0, v16, v19
	v_pack_b32_f16 v19, v58, v85
	v_pack_b32_f16 v22, v83, v22
	ds_write2_b32 v16, v19, v22 offset1:10
	v_pack_b32_f16 v19, v84, v20
	ds_write_b32 v16, v19 offset:80
	v_mul_u32_u24_e32 v16, 0x78, v42
	v_lshlrev_b32_e32 v19, 2, v43
	v_add3_u32 v16, 0, v16, v19
	v_pack_b32_f16 v11, v11, v87
	v_pack_b32_f16 v19, v59, v25
	ds_write2_b32 v16, v11, v19 offset1:10
	v_pack_b32_f16 v11, v86, v23
	;; [unrolled: 8-line block ×5, first 2 shown]
	ds_write_b32 v9, v10 offset:80
	v_mul_u32_u24_e32 v9, 0x78, v54
	v_lshlrev_b32_e32 v10, 2, v55
	v_add3_u32 v9, 0, v9, v10
	v_pack_b32_f16 v10, v57, v74
	v_pack_b32_f16 v11, v68, v72
	v_mul_i32_i24_e32 v7, 0xffffffdc, v4
	ds_write2_b32 v9, v10, v11 offset1:10
	v_pack_b32_f16 v10, v67, v76
	ds_write_b32 v9, v10 offset:80
	s_and_saveexec_b64 s[4:5], s[2:3]
	s_cbranch_execz .LBB0_19
; %bb.18:
	v_add_f16_e32 v9, v28, v13
	v_add_f16_e32 v8, v31, v8
	v_mul_lo_u16_e32 v10, 30, v52
	v_add_f16_e32 v9, v9, v15
	v_add_f16_e32 v8, v8, v14
	v_lshlrev_b32_e32 v11, 2, v53
	v_lshlrev_b32_e32 v10, 2, v10
	s_mov_b32 s6, 0x5040100
	v_add3_u32 v10, 0, v11, v10
	v_pack_b32_f16 v8, v8, v9
	v_perm_b32 v9, v38, v36, s6
	ds_write2_b32 v10, v8, v9 offset1:10
	v_perm_b32 v8, v39, v37, s6
	ds_write_b32 v10, v8 offset:80
.LBB0_19:
	s_or_b64 exec, exec, s[4:5]
	s_movk_i32 s4, 0x89
	v_mul_lo_u16_sdwa v8, v0, s4 dst_sel:DWORD dst_unused:UNUSED_PAD src0_sel:BYTE_0 src1_sel:DWORD
	v_lshrrev_b16_e32 v20, 12, v8
	v_mul_lo_u16_e32 v8, 30, v20
	v_sub_u16_e32 v24, v0, v8
	v_mov_b32_e32 v8, 4
	v_lshlrev_b32_sdwa v9, v8, v24 dst_sel:DWORD dst_unused:UNUSED_PAD src0_sel:DWORD src1_sel:BYTE_0
	s_waitcnt lgkmcnt(0)
	s_barrier
	global_load_dwordx4 v[43:46], v9, s[8:9] offset:80
	v_mul_lo_u16_sdwa v9, v4, s4 dst_sel:DWORD dst_unused:UNUSED_PAD src0_sel:BYTE_0 src1_sel:DWORD
	v_lshrrev_b16_e32 v9, 12, v9
	v_mul_lo_u16_e32 v10, 30, v9
	v_sub_u16_e32 v55, v4, v10
	v_lshlrev_b32_sdwa v8, v8, v55 dst_sel:DWORD dst_unused:UNUSED_PAD src0_sel:DWORD src1_sel:BYTE_0
	global_load_dwordx4 v[51:54], v8, s[8:9] offset:80
	v_add_u32_e32 v40, 0x600, v29
	v_add_u32_e32 v12, 0xc00, v29
	;; [unrolled: 1-line block ×6, first 2 shown]
	s_mov_b32 s4, 0x8889
	v_add_u32_e32 v19, 0x1000, v29
	ds_read_b32 v28, v29
	ds_read2_b32 v[22:23], v40 offset0:66 offset1:156
	ds_read2_b32 v[47:48], v13 offset0:70 offset1:160
	;; [unrolled: 1-line block ×4, first 2 shown]
	v_add_u32_e32 v31, v27, v7
	ds_read2_b32 v[26:27], v18 offset0:94 offset1:184
	ds_read2_b32 v[73:74], v17 offset0:98 offset1:188
	ds_read_b32 v85, v31
	ds_read_b32 v41, v30
	v_mul_u32_u24_sdwa v7, v6, s4 dst_sel:DWORD dst_unused:UNUSED_PAD src0_sel:WORD_0 src1_sel:DWORD
	ds_read2_b32 v[79:80], v19 offset0:146 offset1:236
	v_add_u32_e32 v19, 0x2000, v29
	v_lshrrev_b32_e32 v15, 20, v7
	ds_read2_b32 v[81:82], v19 offset0:22 offset1:112
	v_mul_u32_u24_sdwa v19, v1, s4 dst_sel:DWORD dst_unused:UNUSED_PAD src0_sel:WORD_0 src1_sel:DWORD
	v_mul_lo_u16_e32 v7, 30, v15
	v_lshrrev_b32_e32 v19, 20, v19
	v_sub_u16_e32 v86, v6, v7
	v_mul_lo_u16_e32 v25, 30, v19
	v_lshlrev_b32_e32 v7, 4, v86
	v_sub_u16_e32 v98, v1, v25
	global_load_dwordx4 v[57:60], v7, s[8:9] offset:80
	v_lshlrev_b32_e32 v25, 4, v98
	global_load_dwordx4 v[65:68], v25, s[8:9] offset:80
	v_add_u32_e32 v7, 0x1600, v29
	ds_read2_b32 v[77:78], v7 offset0:122 offset1:212
	v_mul_u32_u24_sdwa v7, v5, s4 dst_sel:DWORD dst_unused:UNUSED_PAD src0_sel:WORD_0 src1_sel:DWORD
	v_lshrrev_b32_e32 v16, 20, v7
	v_mul_lo_u16_e32 v7, 30, v16
	v_sub_u16_e32 v92, v5, v7
	v_lshlrev_b32_e32 v7, 4, v92
	global_load_dwordx4 v[61:64], v7, s[8:9] offset:80
	v_lshlrev_b32_sdwa v25, v21, v24 dst_sel:DWORD dst_unused:UNUSED_PAD src0_sel:DWORD src1_sel:BYTE_0
	s_waitcnt lgkmcnt(10)
	v_lshrrev_b32_e32 v24, 16, v22
	s_waitcnt lgkmcnt(9)
	v_lshrrev_b32_e32 v83, 16, v47
	;; [unrolled: 2-line block ×3, first 2 shown]
	v_lshrrev_b32_e32 v88, 16, v23
	v_add_u32_e32 v10, 0x800, v29
	s_waitcnt lgkmcnt(6)
	v_lshrrev_b32_e32 v89, 16, v26
	ds_read2_b32 v[75:76], v10 offset0:118 offset1:208
	v_lshlrev_b32_sdwa v21, v21, v55 dst_sel:DWORD dst_unused:UNUSED_PAD src0_sel:DWORD src1_sel:BYTE_0
	v_lshrrev_b32_e32 v90, 16, v48
	s_waitcnt lgkmcnt(6)
	v_lshrrev_b32_e32 v91, 16, v73
	v_lshrrev_b32_e32 v94, 16, v27
	s_waitcnt lgkmcnt(0)
	v_lshrrev_b32_e32 v93, 16, v75
	v_lshrrev_b32_e32 v95, 16, v77
	;; [unrolled: 1-line block ×11, first 2 shown]
	s_mov_b32 s5, 0xbb9c
	s_mov_b32 s4, 0xb8b4
	s_movk_i32 s6, 0x34f2
	v_lshrrev_b32_e32 v49, 16, v28
	s_movk_i32 s7, 0x3b9c
	s_movk_i32 s10, 0x38b4
	v_lshrrev_b32_e32 v87, 16, v85
	v_lshrrev_b32_e32 v42, 16, v41
	v_add_u32_e32 v14, 0x400, v29
	ds_read2_b32 v[7:8], v14 offset0:14 offset1:104
	v_mul_u32_u24_e32 v20, 0x258, v20
	s_waitcnt vmcnt(4)
	v_mul_f16_sdwa v106, v43, v24 dst_sel:DWORD dst_unused:UNUSED_PAD src0_sel:WORD_1 src1_sel:DWORD
	v_fma_f16 v106, v43, v22, v106
	v_mul_f16_sdwa v22, v43, v22 dst_sel:DWORD dst_unused:UNUSED_PAD src0_sel:WORD_1 src1_sel:DWORD
	v_fma_f16 v107, v43, v24, -v22
	v_lshrrev_b32_e32 v22, 16, v72
	v_mul_f16_sdwa v24, v44, v22 dst_sel:DWORD dst_unused:UNUSED_PAD src0_sel:WORD_1 src1_sel:DWORD
	v_fma_f16 v43, v44, v72, v24
	v_mul_f16_sdwa v24, v44, v72 dst_sel:DWORD dst_unused:UNUSED_PAD src0_sel:WORD_1 src1_sel:DWORD
	v_fma_f16 v44, v44, v22, -v24
	v_mul_f16_sdwa v22, v83, v45 dst_sel:DWORD dst_unused:UNUSED_PAD src0_sel:DWORD src1_sel:WORD_1
	v_fma_f16 v72, v47, v45, v22
	v_mul_f16_sdwa v22, v47, v45 dst_sel:DWORD dst_unused:UNUSED_PAD src0_sel:DWORD src1_sel:WORD_1
	v_fma_f16 v45, v83, v45, -v22
	v_mul_f16_sdwa v22, v84, v46 dst_sel:DWORD dst_unused:UNUSED_PAD src0_sel:DWORD src1_sel:WORD_1
	v_fma_f16 v47, v70, v46, v22
	v_mul_f16_sdwa v22, v70, v46 dst_sel:DWORD dst_unused:UNUSED_PAD src0_sel:DWORD src1_sel:WORD_1
	v_fma_f16 v46, v84, v46, -v22
	s_waitcnt vmcnt(3)
	v_mul_f16_sdwa v22, v88, v51 dst_sel:DWORD dst_unused:UNUSED_PAD src0_sel:DWORD src1_sel:WORD_1
	v_fma_f16 v55, v23, v51, v22
	v_mul_f16_sdwa v22, v23, v51 dst_sel:DWORD dst_unused:UNUSED_PAD src0_sel:DWORD src1_sel:WORD_1
	v_fma_f16 v70, v88, v51, -v22
	v_mul_f16_sdwa v22, v89, v52 dst_sel:DWORD dst_unused:UNUSED_PAD src0_sel:DWORD src1_sel:WORD_1
	v_fma_f16 v83, v26, v52, v22
	v_mul_f16_sdwa v22, v26, v52 dst_sel:DWORD dst_unused:UNUSED_PAD src0_sel:DWORD src1_sel:WORD_1
	v_fma_f16 v84, v89, v52, -v22
	;; [unrolled: 4-line block ×4, first 2 shown]
	v_lshlrev_b32_e32 v22, 2, v86
	v_sub_f16_e32 v48, v107, v46
	s_waitcnt vmcnt(2)
	v_mul_f16_sdwa v23, v93, v57 dst_sel:DWORD dst_unused:UNUSED_PAD src0_sel:DWORD src1_sel:WORD_1
	v_fma_f16 v86, v75, v57, v23
	v_mul_f16_sdwa v23, v75, v57 dst_sel:DWORD dst_unused:UNUSED_PAD src0_sel:DWORD src1_sel:WORD_1
	v_fma_f16 v75, v93, v57, -v23
	v_mul_f16_sdwa v23, v94, v58 dst_sel:DWORD dst_unused:UNUSED_PAD src0_sel:DWORD src1_sel:WORD_1
	v_fma_f16 v91, v27, v58, v23
	v_mul_f16_sdwa v23, v27, v58 dst_sel:DWORD dst_unused:UNUSED_PAD src0_sel:DWORD src1_sel:WORD_1
	v_fma_f16 v93, v94, v58, -v23
	;; [unrolled: 4-line block ×3, first 2 shown]
	v_mul_f16_sdwa v23, v96, v60 dst_sel:DWORD dst_unused:UNUSED_PAD src0_sel:DWORD src1_sel:WORD_1
	v_fma_f16 v95, v74, v60, v23
	v_mul_f16_sdwa v23, v74, v60 dst_sel:DWORD dst_unused:UNUSED_PAD src0_sel:DWORD src1_sel:WORD_1
	s_waitcnt vmcnt(0)
	v_mul_f16_sdwa v24, v97, v61 dst_sel:DWORD dst_unused:UNUSED_PAD src0_sel:DWORD src1_sel:WORD_1
	v_fma_f16 v74, v96, v60, -v23
	v_lshlrev_b32_e32 v23, 2, v92
	v_fma_f16 v92, v76, v61, v24
	v_mul_f16_sdwa v24, v76, v61 dst_sel:DWORD dst_unused:UNUSED_PAD src0_sel:DWORD src1_sel:WORD_1
	v_fma_f16 v76, v97, v61, -v24
	v_mul_f16_sdwa v24, v99, v62 dst_sel:DWORD dst_unused:UNUSED_PAD src0_sel:DWORD src1_sel:WORD_1
	v_fma_f16 v96, v79, v62, v24
	v_mul_f16_sdwa v24, v79, v62 dst_sel:DWORD dst_unused:UNUSED_PAD src0_sel:DWORD src1_sel:WORD_1
	v_fma_f16 v79, v99, v62, -v24
	v_mul_f16_sdwa v24, v100, v63 dst_sel:DWORD dst_unused:UNUSED_PAD src0_sel:DWORD src1_sel:WORD_1
	;; [unrolled: 4-line block ×3, first 2 shown]
	v_fma_f16 v99, v81, v64, v24
	v_mul_f16_sdwa v24, v81, v64 dst_sel:DWORD dst_unused:UNUSED_PAD src0_sel:DWORD src1_sel:WORD_1
	v_mul_f16_sdwa v26, v102, v65 dst_sel:DWORD dst_unused:UNUSED_PAD src0_sel:DWORD src1_sel:WORD_1
	v_fma_f16 v81, v101, v64, -v24
	v_lshlrev_b32_e32 v24, 2, v98
	v_fma_f16 v98, v71, v65, v26
	v_mul_f16_sdwa v26, v71, v65 dst_sel:DWORD dst_unused:UNUSED_PAD src0_sel:DWORD src1_sel:WORD_1
	v_fma_f16 v71, v102, v65, -v26
	v_mul_f16_sdwa v26, v103, v66 dst_sel:DWORD dst_unused:UNUSED_PAD src0_sel:DWORD src1_sel:WORD_1
	v_fma_f16 v100, v80, v66, v26
	v_mul_f16_sdwa v26, v80, v66 dst_sel:DWORD dst_unused:UNUSED_PAD src0_sel:DWORD src1_sel:WORD_1
	v_fma_f16 v66, v103, v66, -v26
	v_mul_f16_sdwa v26, v104, v67 dst_sel:DWORD dst_unused:UNUSED_PAD src0_sel:DWORD src1_sel:WORD_1
	;; [unrolled: 4-line block ×3, first 2 shown]
	v_fma_f16 v69, v82, v68, v26
	v_mul_f16_sdwa v26, v82, v68 dst_sel:DWORD dst_unused:UNUSED_PAD src0_sel:DWORD src1_sel:WORD_1
	v_fma_f16 v68, v105, v68, -v26
	v_add_f16_e32 v26, v28, v106
	v_add_f16_e32 v26, v26, v43
	;; [unrolled: 1-line block ×5, first 2 shown]
	v_fma_f16 v26, v26, -0.5, v28
	v_fma_f16 v27, v48, s5, v26
	v_sub_f16_e32 v51, v44, v45
	v_sub_f16_e32 v52, v106, v43
	;; [unrolled: 1-line block ×3, first 2 shown]
	v_fma_f16 v27, v51, s4, v27
	v_add_f16_e32 v52, v52, v54
	v_fma_f16 v59, v52, s6, v27
	v_add_f16_e32 v27, v106, v47
	v_fma_f16 v28, v27, -0.5, v28
	v_fma_f16 v27, v51, s7, v28
	v_fma_f16 v28, v51, s5, v28
	v_fma_f16 v26, v48, s7, v26
	v_fma_f16 v27, v48, s4, v27
	v_fma_f16 v28, v48, s10, v28
	v_add_f16_e32 v48, v49, v107
	v_add_f16_e32 v48, v48, v44
	v_fma_f16 v26, v51, s10, v26
	v_add_f16_e32 v48, v48, v45
	v_fma_f16 v26, v52, s6, v26
	v_sub_f16_e32 v52, v43, v106
	v_sub_f16_e32 v54, v72, v47
	v_add_f16_e32 v82, v48, v46
	v_add_f16_e32 v48, v44, v45
	;; [unrolled: 1-line block ×3, first 2 shown]
	v_fma_f16 v48, v48, -0.5, v49
	v_sub_f16_e32 v47, v106, v47
	v_fma_f16 v27, v52, s6, v27
	v_fma_f16 v28, v52, s6, v28
	;; [unrolled: 1-line block ×3, first 2 shown]
	v_sub_f16_e32 v52, v43, v72
	v_fma_f16 v43, v52, s10, v51
	v_sub_f16_e32 v51, v107, v44
	v_sub_f16_e32 v54, v46, v45
	v_add_f16_e32 v51, v51, v54
	v_fma_f16 v72, v51, s6, v43
	v_fma_f16 v43, v47, s5, v48
	v_add_f16_e32 v48, v107, v46
	v_fma_f16 v48, v48, -0.5, v49
	v_fma_f16 v49, v52, s5, v48
	v_sub_f16_e32 v45, v45, v46
	v_fma_f16 v46, v52, s7, v48
	v_fma_f16 v43, v52, s4, v43
	;; [unrolled: 1-line block ×3, first 2 shown]
	v_sub_f16_e32 v44, v44, v107
	v_fma_f16 v46, v47, s4, v46
	v_add_f16_e32 v47, v83, v88
	v_fma_f16 v43, v51, s6, v43
	v_add_f16_e32 v45, v44, v45
	v_fma_f16 v47, v47, -0.5, v85
	v_sub_f16_e32 v51, v70, v73
	v_fma_f16 v44, v45, s6, v49
	v_fma_f16 v48, v51, s5, v47
	v_sub_f16_e32 v52, v84, v89
	v_sub_f16_e32 v49, v55, v83
	;; [unrolled: 1-line block ×3, first 2 shown]
	v_fma_f16 v47, v51, s7, v47
	v_fma_f16 v48, v52, s4, v48
	v_add_f16_e32 v49, v49, v54
	v_fma_f16 v47, v52, s10, v47
	v_fma_f16 v48, v49, s6, v48
	;; [unrolled: 1-line block ×3, first 2 shown]
	v_add_f16_e32 v49, v55, v90
	v_fma_f16 v54, v49, -0.5, v85
	v_fma_f16 v49, v52, s7, v54
	v_sub_f16_e32 v57, v83, v55
	v_sub_f16_e32 v58, v88, v90
	v_fma_f16 v52, v52, s5, v54
	v_add_f16_e32 v54, v84, v89
	v_fma_f16 v49, v51, s4, v49
	v_add_f16_e32 v57, v57, v58
	v_fma_f16 v51, v51, s10, v52
	v_fma_f16 v54, v54, -0.5, v87
	v_sub_f16_e32 v58, v55, v90
	v_fma_f16 v46, v45, s6, v46
	v_add_f16_e32 v45, v85, v55
	v_fma_f16 v49, v57, s6, v49
	v_fma_f16 v51, v57, s6, v51
	;; [unrolled: 1-line block ×3, first 2 shown]
	v_sub_f16_e32 v60, v83, v88
	v_sub_f16_e32 v57, v70, v84
	;; [unrolled: 1-line block ×3, first 2 shown]
	v_fma_f16 v54, v58, s5, v54
	v_fma_f16 v55, v60, s10, v55
	v_add_f16_e32 v57, v57, v61
	v_fma_f16 v54, v60, s4, v54
	v_fma_f16 v55, v57, s6, v55
	;; [unrolled: 1-line block ×3, first 2 shown]
	v_add_f16_e32 v57, v70, v73
	v_fma_f16 v61, v57, -0.5, v87
	v_fma_f16 v57, v60, s5, v61
	v_sub_f16_e32 v62, v84, v70
	v_sub_f16_e32 v63, v89, v73
	v_fma_f16 v60, v60, s7, v61
	v_add_f16_e32 v61, v91, v94
	v_fma_f16 v57, v58, s10, v57
	v_add_f16_e32 v62, v62, v63
	v_fma_f16 v58, v58, s4, v60
	v_fma_f16 v61, v61, -0.5, v41
	v_sub_f16_e32 v64, v75, v74
	v_add_f16_e32 v52, v87, v70
	v_fma_f16 v57, v62, s6, v57
	v_fma_f16 v60, v62, s6, v58
	;; [unrolled: 1-line block ×3, first 2 shown]
	v_sub_f16_e32 v65, v93, v77
	v_sub_f16_e32 v63, v86, v91
	;; [unrolled: 1-line block ×3, first 2 shown]
	v_fma_f16 v61, v64, s7, v61
	v_fma_f16 v62, v65, s4, v62
	v_add_f16_e32 v63, v63, v70
	v_fma_f16 v61, v65, s10, v61
	v_add_f16_e32 v52, v52, v84
	v_fma_f16 v62, v63, s6, v62
	v_fma_f16 v61, v63, s6, v61
	v_add_f16_e32 v63, v86, v95
	v_add_f16_e32 v52, v52, v89
	;; [unrolled: 1-line block ×3, first 2 shown]
	v_fma_f16 v41, v63, -0.5, v41
	v_add_f16_e32 v52, v52, v73
	v_fma_f16 v63, v65, s7, v41
	v_sub_f16_e32 v70, v91, v86
	v_sub_f16_e32 v73, v94, v95
	v_fma_f16 v41, v65, s5, v41
	v_add_f16_e32 v70, v70, v73
	v_fma_f16 v41, v64, s10, v41
	v_fma_f16 v63, v64, s4, v63
	;; [unrolled: 1-line block ×3, first 2 shown]
	v_add_f16_e32 v41, v42, v75
	v_add_f16_e32 v41, v41, v93
	;; [unrolled: 1-line block ×5, first 2 shown]
	v_fma_f16 v63, v70, s6, v63
	v_fma_f16 v41, v41, -0.5, v42
	v_sub_f16_e32 v70, v86, v95
	v_add_f16_e32 v45, v45, v83
	v_fma_f16 v73, v70, s7, v41
	v_sub_f16_e32 v83, v91, v94
	v_sub_f16_e32 v84, v75, v93
	;; [unrolled: 1-line block ×3, first 2 shown]
	v_fma_f16 v41, v70, s5, v41
	v_fma_f16 v73, v83, s10, v73
	v_add_f16_e32 v84, v84, v85
	v_fma_f16 v41, v83, s4, v41
	v_fma_f16 v73, v84, s6, v73
	;; [unrolled: 1-line block ×3, first 2 shown]
	v_add_f16_e32 v41, v75, v74
	v_fma_f16 v41, v41, -0.5, v42
	v_fma_f16 v42, v83, s5, v41
	v_sub_f16_e32 v75, v93, v75
	v_sub_f16_e32 v74, v77, v74
	v_fma_f16 v41, v83, s7, v41
	v_add_f16_e32 v74, v75, v74
	v_fma_f16 v41, v70, s4, v41
	v_fma_f16 v42, v70, s10, v42
	;; [unrolled: 1-line block ×3, first 2 shown]
	s_waitcnt lgkmcnt(0)
	v_add_f16_e32 v41, v7, v92
	v_add_f16_e32 v41, v41, v96
	;; [unrolled: 1-line block ×3, first 2 shown]
	v_fma_f16 v75, v74, s6, v42
	v_add_f16_e32 v74, v41, v99
	v_add_f16_e32 v41, v96, v97
	v_fma_f16 v41, v41, -0.5, v7
	v_sub_f16_e32 v42, v76, v81
	v_fma_f16 v77, v42, s5, v41
	v_sub_f16_e32 v83, v79, v78
	v_sub_f16_e32 v85, v92, v96
	;; [unrolled: 1-line block ×3, first 2 shown]
	v_fma_f16 v41, v42, s7, v41
	v_fma_f16 v77, v83, s4, v77
	v_add_f16_e32 v85, v85, v86
	v_fma_f16 v41, v83, s10, v41
	v_fma_f16 v77, v85, s6, v77
	;; [unrolled: 1-line block ×3, first 2 shown]
	v_add_f16_e32 v41, v92, v99
	v_lshrrev_b32_e32 v56, 16, v7
	v_fma_f16 v7, v41, -0.5, v7
	v_fma_f16 v41, v83, s7, v7
	v_sub_f16_e32 v86, v96, v92
	v_sub_f16_e32 v87, v97, v99
	v_fma_f16 v41, v42, s4, v41
	v_add_f16_e32 v86, v86, v87
	v_fma_f16 v87, v86, s6, v41
	v_add_f16_e32 v41, v56, v76
	v_add_f16_e32 v41, v41, v79
	;; [unrolled: 1-line block ×3, first 2 shown]
	v_fma_f16 v7, v83, s5, v7
	v_add_f16_e32 v83, v41, v81
	v_add_f16_e32 v41, v79, v78
	;; [unrolled: 1-line block ×3, first 2 shown]
	v_fma_f16 v7, v42, s10, v7
	v_fma_f16 v41, v41, -0.5, v56
	v_sub_f16_e32 v42, v92, v99
	v_add_f16_e32 v45, v45, v90
	v_fma_f16 v7, v86, s6, v7
	v_fma_f16 v86, v42, s7, v41
	v_sub_f16_e32 v88, v96, v97
	v_sub_f16_e32 v89, v76, v79
	;; [unrolled: 1-line block ×3, first 2 shown]
	v_fma_f16 v41, v42, s5, v41
	v_fma_f16 v86, v88, s10, v86
	v_add_f16_e32 v89, v89, v90
	v_fma_f16 v41, v88, s4, v41
	v_fma_f16 v86, v89, s6, v86
	;; [unrolled: 1-line block ×3, first 2 shown]
	v_add_f16_e32 v41, v76, v81
	v_fma_f16 v41, v41, -0.5, v56
	v_fma_f16 v56, v88, s5, v41
	v_sub_f16_e32 v76, v79, v76
	v_sub_f16_e32 v78, v78, v81
	v_fma_f16 v41, v88, s7, v41
	v_fma_f16 v56, v42, s10, v56
	v_add_f16_e32 v76, v76, v78
	v_fma_f16 v41, v42, s4, v41
	v_fma_f16 v56, v76, s6, v56
	;; [unrolled: 1-line block ×3, first 2 shown]
	v_add_f16_e32 v41, v8, v98
	v_add_f16_e32 v41, v41, v100
	;; [unrolled: 1-line block ×5, first 2 shown]
	v_fma_f16 v41, v41, -0.5, v8
	v_sub_f16_e32 v42, v71, v68
	v_fma_f16 v79, v42, s5, v41
	v_sub_f16_e32 v81, v66, v67
	v_sub_f16_e32 v88, v98, v100
	;; [unrolled: 1-line block ×3, first 2 shown]
	v_fma_f16 v41, v42, s7, v41
	v_fma_f16 v79, v81, s4, v79
	v_add_f16_e32 v88, v88, v90
	v_fma_f16 v41, v81, s10, v41
	v_add3_u32 v20, 0, v20, v25
	v_pack_b32_f16 v25, v53, v82
	v_pack_b32_f16 v53, v59, v72
	v_fma_f16 v79, v88, s6, v79
	v_fma_f16 v41, v88, s6, v41
	v_add_f16_e32 v88, v98, v69
	s_barrier
	ds_write2_b32 v20, v25, v53 offset1:30
	v_pack_b32_f16 v25, v27, v44
	v_pack_b32_f16 v27, v28, v46
	v_lshrrev_b32_e32 v50, 16, v8
	v_fma_f16 v8, v88, -0.5, v8
	ds_write2_b32 v20, v25, v27 offset0:60 offset1:90
	v_pack_b32_f16 v25, v26, v43
	v_mul_u32_u24_e32 v9, 0x258, v9
	v_fma_f16 v88, v81, s7, v8
	v_fma_f16 v8, v81, s5, v8
	ds_write_b32 v20, v25 offset:480
	v_add3_u32 v9, 0, v9, v21
	v_pack_b32_f16 v20, v45, v52
	v_pack_b32_f16 v21, v48, v55
	v_add_f16_e32 v58, v58, v91
	v_fma_f16 v88, v42, s4, v88
	v_fma_f16 v8, v42, s10, v8
	v_add_f16_e32 v42, v50, v71
	ds_write2_b32 v9, v20, v21 offset1:30
	v_pack_b32_f16 v20, v49, v57
	v_pack_b32_f16 v21, v51, v60
	v_add_f16_e32 v58, v58, v94
	v_add_f16_e32 v42, v42, v66
	ds_write2_b32 v9, v20, v21 offset0:60 offset1:90
	v_pack_b32_f16 v20, v47, v54
	v_add_f16_e32 v58, v58, v95
	v_add_f16_e32 v42, v42, v67
	ds_write_b32 v9, v20 offset:480
	v_mul_u32_u24_e32 v9, 0x258, v15
	v_sub_f16_e32 v90, v100, v98
	v_sub_f16_e32 v91, v80, v69
	v_add_f16_e32 v81, v42, v68
	v_add_f16_e32 v42, v66, v67
	v_add3_u32 v9, 0, v9, v22
	v_pack_b32_f16 v15, v58, v65
	v_pack_b32_f16 v20, v62, v73
	v_add_f16_e32 v90, v90, v91
	v_fma_f16 v42, v42, -0.5, v50
	v_sub_f16_e32 v69, v98, v69
	ds_write2_b32 v9, v15, v20 offset1:30
	v_pack_b32_f16 v15, v63, v75
	v_pack_b32_f16 v20, v64, v70
	v_fma_f16 v88, v90, s6, v88
	v_fma_f16 v8, v90, s6, v8
	;; [unrolled: 1-line block ×3, first 2 shown]
	v_sub_f16_e32 v80, v100, v80
	v_sub_f16_e32 v91, v71, v66
	;; [unrolled: 1-line block ×3, first 2 shown]
	v_fma_f16 v42, v69, s5, v42
	ds_write2_b32 v9, v15, v20 offset0:60 offset1:90
	v_pack_b32_f16 v15, v61, v84
	v_fma_f16 v90, v80, s10, v90
	v_add_f16_e32 v91, v91, v92
	v_fma_f16 v42, v80, s4, v42
	ds_write_b32 v9, v15 offset:480
	v_mul_u32_u24_e32 v9, 0x258, v16
	v_fma_f16 v90, v91, s6, v90
	v_fma_f16 v42, v91, s6, v42
	v_add_f16_e32 v91, v71, v68
	v_add3_u32 v9, 0, v9, v23
	v_pack_b32_f16 v15, v74, v83
	v_pack_b32_f16 v16, v77, v86
	v_fma_f16 v50, v91, -0.5, v50
	ds_write2_b32 v9, v15, v16 offset1:30
	v_pack_b32_f16 v15, v87, v56
	v_pack_b32_f16 v7, v7, v76
	v_fma_f16 v91, v80, s5, v50
	v_sub_f16_e32 v66, v66, v71
	v_sub_f16_e32 v67, v67, v68
	v_fma_f16 v50, v80, s7, v50
	ds_write2_b32 v9, v15, v7 offset0:60 offset1:90
	v_pack_b32_f16 v7, v85, v89
	v_fma_f16 v91, v69, s10, v91
	v_add_f16_e32 v66, v66, v67
	v_fma_f16 v50, v69, s4, v50
	ds_write_b32 v9, v7 offset:480
	v_mul_u32_u24_e32 v7, 0x258, v19
	v_fma_f16 v67, v66, s6, v91
	v_fma_f16 v50, v66, s6, v50
	v_add3_u32 v7, 0, v7, v24
	v_pack_b32_f16 v9, v78, v81
	v_pack_b32_f16 v15, v79, v90
	ds_write2_b32 v7, v9, v15 offset1:30
	v_pack_b32_f16 v9, v88, v67
	v_pack_b32_f16 v8, v8, v50
	ds_write2_b32 v7, v9, v8 offset0:60 offset1:90
	v_pack_b32_f16 v8, v41, v42
	ds_write_b32 v7, v8 offset:480
	v_add_u32_e32 v7, 0x1800, v29
	s_waitcnt lgkmcnt(0)
	s_barrier
	ds_read2_b32 v[9:10], v10 offset0:118 offset1:238
	ds_read2_b32 v[15:16], v13 offset0:100 offset1:220
	;; [unrolled: 1-line block ×4, first 2 shown]
	ds_read_b32 v46, v29 offset:8520
	ds_read_b32 v45, v29
	ds_read_b32 v44, v31
	;; [unrolled: 1-line block ×3, first 2 shown]
	ds_read2_b32 v[13:14], v14 offset0:14 offset1:104
	ds_read2_b32 v[27:28], v18 offset0:124 offset1:214
	;; [unrolled: 1-line block ×4, first 2 shown]
	v_add_u32_e32 v7, 0x1200, v29
	ds_read2_b32 v[21:22], v7 offset0:48 offset1:138
	ds_read2_b32 v[17:18], v17 offset0:158 offset1:248
	s_and_saveexec_b64 s[4:5], s[2:3]
	s_cbranch_execz .LBB0_21
; %bb.20:
	ds_read_b32 v41, v29 offset:2880
	ds_read_b32 v36, v29 offset:5880
	;; [unrolled: 1-line block ×3, first 2 shown]
	s_waitcnt lgkmcnt(2)
	v_lshrrev_b32_e32 v42, 16, v41
	s_waitcnt lgkmcnt(1)
	v_lshrrev_b32_e32 v38, 16, v36
	;; [unrolled: 2-line block ×3, first 2 shown]
.LBB0_21:
	s_or_b64 exec, exec, s[4:5]
	v_lshlrev_b32_e32 v7, 1, v0
	v_mov_b32_e32 v8, 0
	v_lshlrev_b64 v[47:48], 2, v[7:8]
	v_mov_b32_e32 v53, s9
	v_add_co_u32_e64 v47, s[4:5], s8, v47
	v_addc_co_u32_e64 v48, s[4:5], v53, v48, s[4:5]
	v_subrev_u32_e32 v49, 60, v0
	v_cmp_gt_u32_e64 s[4:5], 60, v0
	v_cndmask_b32_e64 v61, v49, v4, s[4:5]
	v_lshlrev_b32_e32 v49, 1, v61
	v_mov_b32_e32 v50, v8
	global_load_dwordx2 v[47:48], v[47:48], off offset:560
	v_lshlrev_b64 v[49:50], 2, v[49:50]
	v_add_u32_e32 v7, 60, v7
	v_add_co_u32_e64 v49, s[4:5], s8, v49
	v_addc_co_u32_e64 v50, s[4:5], v53, v50, s[4:5]
	global_load_dwordx2 v[49:50], v[49:50], off offset:560
	v_lshlrev_b64 v[51:52], 2, v[7:8]
	v_lshrrev_b16_e32 v7, 1, v5
	v_add_co_u32_e64 v51, s[4:5], s8, v51
	v_addc_co_u32_e64 v52, s[4:5], v53, v52, s[4:5]
	v_mul_u32_u24_e32 v7, 0xda75, v7
	global_load_dwordx2 v[51:52], v[51:52], off offset:560
	v_lshrrev_b32_e32 v7, 22, v7
	v_mul_lo_u16_e32 v53, 0x96, v7
	v_sub_u16_e32 v62, v5, v53
	v_lshrrev_b16_e32 v55, 1, v1
	v_lshlrev_b32_e32 v53, 3, v62
	v_mul_u32_u24_e32 v55, 0xda75, v55
	global_load_dwordx2 v[53:54], v53, s[8:9] offset:560
	v_lshrrev_b32_e32 v55, 22, v55
	v_lshrrev_b16_e32 v57, 1, v33
	v_lshrrev_b16_e32 v59, 1, v35
	v_mul_lo_u16_e32 v55, 0x96, v55
	v_mul_u32_u24_e32 v57, 0xda75, v57
	v_mul_u32_u24_e32 v59, 0xda75, v59
	v_sub_u16_e32 v63, v1, v55
	v_lshrrev_b32_e32 v57, 22, v57
	v_lshrrev_b32_e32 v59, 22, v59
	v_lshlrev_b32_e32 v55, 3, v63
	v_mul_lo_u16_e32 v57, 0x96, v57
	v_mul_lo_u16_e32 v59, 0x96, v59
	global_load_dwordx2 v[55:56], v55, s[8:9] offset:560
	v_sub_u16_e32 v64, v33, v57
	v_sub_u16_e32 v35, v35, v59
	v_lshlrev_b32_e32 v33, 3, v64
	v_lshlrev_b32_e32 v59, 3, v35
	global_load_dwordx2 v[59:60], v59, s[8:9] offset:560
	s_waitcnt lgkmcnt(13)
	v_lshrrev_b32_e32 v84, 16, v10
	global_load_dwordx2 v[57:58], v33, s[8:9] offset:560
	v_lshrrev_b16_e32 v33, 1, v34
	v_mul_u32_u24_e32 v33, 0xda75, v33
	v_lshrrev_b32_e32 v65, 22, v33
	v_mul_lo_u16_e32 v33, 0x96, v65
	v_sub_u16_e32 v66, v34, v33
	v_lshlrev_b32_e32 v33, 3, v66
	global_load_dwordx2 v[33:34], v33, s[8:9] offset:560
	s_waitcnt lgkmcnt(12)
	v_lshrrev_b32_e32 v85, 16, v16
	s_waitcnt lgkmcnt(11)
	v_lshrrev_b32_e32 v86, 16, v19
	;; [unrolled: 2-line block ×3, first 2 shown]
	v_lshrrev_b32_e32 v88, 16, v20
	v_lshrrev_b32_e32 v89, 16, v24
	s_waitcnt lgkmcnt(4)
	v_lshrrev_b32_e32 v90, 16, v27
	s_waitcnt lgkmcnt(3)
	v_lshrrev_b32_e32 v71, 16, v25
	v_lshrrev_b32_e32 v73, 16, v28
	;; [unrolled: 1-line block ×3, first 2 shown]
	s_waitcnt lgkmcnt(1)
	v_lshrrev_b32_e32 v76, 16, v21
	s_waitcnt lgkmcnt(0)
	v_lshrrev_b32_e32 v77, 16, v17
	v_lshrrev_b32_e32 v79, 16, v22
	;; [unrolled: 1-line block ×6, first 2 shown]
	s_mov_b32 s6, 0xbaee
	s_movk_i32 s7, 0x3aee
	v_lshrrev_b32_e32 v68, 16, v44
	v_lshrrev_b32_e32 v69, 16, v43
	;; [unrolled: 1-line block ×7, first 2 shown]
	s_waitcnt vmcnt(0)
	s_barrier
	v_cmp_lt_u32_e64 s[4:5], 59, v0
	v_mul_u32_u24_e32 v7, 0x708, v7
	v_mul_f16_sdwa v91, v47, v84 dst_sel:DWORD dst_unused:UNUSED_PAD src0_sel:WORD_1 src1_sel:DWORD
	v_fma_f16 v91, v47, v10, v91
	v_mul_f16_sdwa v10, v47, v10 dst_sel:DWORD dst_unused:UNUSED_PAD src0_sel:WORD_1 src1_sel:DWORD
	v_fma_f16 v10, v47, v84, -v10
	v_mul_f16_sdwa v47, v48, v85 dst_sel:DWORD dst_unused:UNUSED_PAD src0_sel:WORD_1 src1_sel:DWORD
	v_fma_f16 v47, v48, v16, v47
	v_mul_f16_sdwa v16, v48, v16 dst_sel:DWORD dst_unused:UNUSED_PAD src0_sel:WORD_1 src1_sel:DWORD
	v_fma_f16 v16, v48, v85, -v16
	;; [unrolled: 4-line block ×7, first 2 shown]
	v_mul_f16_sdwa v53, v71, v54 dst_sel:DWORD dst_unused:UNUSED_PAD src0_sel:DWORD src1_sel:WORD_1
	v_fma_f16 v53, v25, v54, v53
	v_mul_f16_sdwa v25, v25, v54 dst_sel:DWORD dst_unused:UNUSED_PAD src0_sel:DWORD src1_sel:WORD_1
	v_fma_f16 v25, v71, v54, -v25
	v_add_f16_e32 v71, v91, v47
	v_mul_f16_sdwa v54, v73, v55 dst_sel:DWORD dst_unused:UNUSED_PAD src0_sel:DWORD src1_sel:WORD_1
	v_fma_f16 v54, v28, v55, v54
	v_mul_f16_sdwa v28, v28, v55 dst_sel:DWORD dst_unused:UNUSED_PAD src0_sel:DWORD src1_sel:WORD_1
	v_fma_f16 v28, v73, v55, -v28
	v_mul_f16_sdwa v55, v74, v56 dst_sel:DWORD dst_unused:UNUSED_PAD src0_sel:DWORD src1_sel:WORD_1
	v_fma_f16 v55, v26, v56, v55
	v_mul_f16_sdwa v26, v26, v56 dst_sel:DWORD dst_unused:UNUSED_PAD src0_sel:DWORD src1_sel:WORD_1
	v_fma_f16 v26, v74, v56, -v26
	;; [unrolled: 4-line block ×8, first 2 shown]
	v_add_f16_e32 v60, v45, v91
	v_fma_f16 v45, v71, -0.5, v45
	v_sub_f16_e32 v71, v10, v16
	v_fma_f16 v73, v71, s6, v45
	v_fma_f16 v45, v71, s7, v45
	v_add_f16_e32 v71, v67, v10
	v_add_f16_e32 v10, v10, v16
	;; [unrolled: 1-line block ×3, first 2 shown]
	v_fma_f16 v10, v10, -0.5, v67
	v_sub_f16_e32 v16, v91, v47
	v_add_f16_e32 v67, v48, v49
	v_add_f16_e32 v60, v60, v47
	v_fma_f16 v47, v16, s7, v10
	v_fma_f16 v10, v16, s6, v10
	v_add_f16_e32 v16, v44, v48
	v_fma_f16 v44, v67, -0.5, v44
	v_sub_f16_e32 v67, v19, v23
	v_fma_f16 v74, v67, s6, v44
	v_fma_f16 v44, v67, s7, v44
	v_add_f16_e32 v67, v68, v19
	v_add_f16_e32 v19, v19, v23
	v_add_f16_e32 v16, v16, v49
	v_add_f16_e32 v67, v67, v23
	v_fma_f16 v19, v19, -0.5, v68
	v_sub_f16_e32 v23, v48, v49
	v_add_f16_e32 v49, v50, v51
	v_fma_f16 v48, v23, s7, v19
	v_fma_f16 v19, v23, s6, v19
	v_add_f16_e32 v23, v43, v50
	v_fma_f16 v43, v49, -0.5, v43
	v_sub_f16_e32 v49, v20, v24
	v_fma_f16 v68, v49, s6, v43
	v_fma_f16 v43, v49, s7, v43
	v_add_f16_e32 v49, v69, v20
	v_add_f16_e32 v20, v20, v24
	v_add_f16_e32 v23, v23, v51
	v_add_f16_e32 v49, v49, v24
	v_fma_f16 v20, v20, -0.5, v69
	v_sub_f16_e32 v24, v50, v51
	;; [unrolled: 14-line block ×5, first 2 shown]
	v_add_f16_e32 v57, v58, v33
	v_fma_f16 v56, v21, s7, v17
	v_fma_f16 v17, v21, s6, v17
	v_add_f16_e32 v21, v12, v58
	v_fma_f16 v12, v57, -0.5, v12
	v_sub_f16_e32 v57, v22, v18
	v_fma_f16 v75, v57, s6, v12
	v_fma_f16 v12, v57, s7, v12
	v_add_f16_e32 v57, v78, v22
	v_add_f16_e32 v57, v57, v18
	;; [unrolled: 1-line block ×3, first 2 shown]
	v_fma_f16 v18, v18, -0.5, v78
	v_sub_f16_e32 v22, v58, v33
	v_add_f16_e32 v58, v34, v59
	v_add_f16_e32 v21, v21, v33
	v_fma_f16 v33, v22, s7, v18
	v_fma_f16 v18, v22, s6, v18
	v_add_f16_e32 v22, v9, v34
	v_fma_f16 v9, v58, -0.5, v9
	v_sub_f16_e32 v58, v15, v46
	v_fma_f16 v76, v58, s6, v9
	v_fma_f16 v9, v58, s7, v9
	v_add_f16_e32 v58, v81, v15
	v_add_f16_e32 v15, v15, v46
	v_fma_f16 v15, v15, -0.5, v81
	v_sub_f16_e32 v34, v34, v59
	v_pack_b32_f16 v10, v45, v10
	v_add_f16_e32 v58, v58, v46
	v_fma_f16 v46, v34, s7, v15
	v_fma_f16 v15, v34, s6, v15
	v_pack_b32_f16 v34, v60, v71
	v_pack_b32_f16 v47, v73, v47
	ds_write_b32 v29, v10 offset:1200
	v_mov_b32_e32 v10, 0x708
	ds_write2_b32 v29, v34, v47 offset1:150
	v_cndmask_b32_e64 v10, 0, v10, s[4:5]
	v_lshlrev_b32_e32 v34, 2, v61
	v_add3_u32 v10, 0, v10, v34
	v_pack_b32_f16 v16, v16, v67
	v_pack_b32_f16 v34, v74, v48
	ds_write2_b32 v10, v16, v34 offset1:150
	v_pack_b32_f16 v16, v44, v19
	ds_write_b32 v10, v16 offset:1200
	v_pack_b32_f16 v10, v23, v49
	v_pack_b32_f16 v16, v68, v50
	ds_write2_b32 v40, v10, v16 offset0:96 offset1:246
	v_pack_b32_f16 v10, v43, v20
	ds_write_b32 v29, v10 offset:3120
	v_lshlrev_b32_e32 v10, 2, v62
	v_add3_u32 v7, 0, v7, v10
	v_pack_b32_f16 v10, v24, v51
	v_pack_b32_f16 v16, v69, v52
	ds_write2_b32 v7, v10, v16 offset1:150
	v_pack_b32_f16 v10, v13, v25
	ds_write_b32 v7, v10 offset:1200
	v_lshl_add_u32 v7, v63, 2, 0
	v_pack_b32_f16 v10, v27, v53
	v_pack_b32_f16 v13, v70, v54
	v_add_u32_e32 v16, 0xe00, v7
	ds_write2_b32 v16, v10, v13 offset0:4 offset1:154
	v_pack_b32_f16 v10, v14, v26
	ds_write_b32 v7, v10 offset:4800
	v_lshl_add_u32 v7, v64, 2, 0
	v_pack_b32_f16 v10, v28, v55
	v_pack_b32_f16 v13, v72, v56
	v_add_u32_e32 v14, 0x1400, v7
	ds_write2_b32 v14, v10, v13 offset0:70 offset1:220
	v_pack_b32_f16 v10, v11, v17
	ds_write_b32 v7, v10 offset:6600
	v_mul_u32_u24_e32 v7, 0x708, v65
	v_lshlrev_b32_e32 v10, 2, v66
	v_add3_u32 v7, 0, v7, v10
	v_pack_b32_f16 v10, v21, v57
	v_pack_b32_f16 v11, v75, v33
	ds_write2_b32 v7, v10, v11 offset1:150
	v_pack_b32_f16 v10, v12, v18
	v_add_f16_e32 v22, v22, v59
	ds_write_b32 v7, v10 offset:1200
	v_lshl_add_u32 v7, v35, 2, 0
	v_pack_b32_f16 v10, v22, v58
	v_pack_b32_f16 v11, v76, v46
	v_add_u32_e32 v12, 0x1c00, v7
	v_pack_b32_f16 v9, v9, v15
	ds_write2_b32 v12, v10, v11 offset0:8 offset1:158
	ds_write_b32 v7, v9 offset:8400
	s_and_saveexec_b64 s[4:5], s[2:3]
	s_cbranch_execz .LBB0_23
; %bb.22:
	v_lshrrev_b16_e32 v7, 1, v32
	v_mul_u32_u24_e32 v7, 0xda75, v7
	v_lshrrev_b32_e32 v7, 22, v7
	v_mul_lo_u16_e32 v7, 0x96, v7
	v_sub_u16_e32 v7, v32, v7
	v_lshlrev_b32_e32 v9, 3, v7
	global_load_dwordx2 v[9:10], v9, s[8:9] offset:560
	v_lshl_add_u32 v7, v7, 2, 0
	v_add_u32_e32 v11, 0x1c00, v7
	s_waitcnt vmcnt(0)
	v_mul_f16_sdwa v12, v36, v9 dst_sel:DWORD dst_unused:UNUSED_PAD src0_sel:DWORD src1_sel:WORD_1
	v_mul_f16_sdwa v13, v37, v10 dst_sel:DWORD dst_unused:UNUSED_PAD src0_sel:DWORD src1_sel:WORD_1
	;; [unrolled: 1-line block ×4, first 2 shown]
	v_fma_f16 v12, v38, v9, -v12
	v_fma_f16 v13, v39, v10, -v13
	v_fma_f16 v9, v36, v9, v14
	v_fma_f16 v10, v37, v10, v15
	v_add_f16_e32 v14, v12, v13
	v_add_f16_e32 v16, v42, v12
	;; [unrolled: 1-line block ×3, first 2 shown]
	v_sub_f16_e32 v15, v9, v10
	v_sub_f16_e32 v12, v12, v13
	v_add_f16_e32 v9, v41, v9
	v_fma_f16 v14, v14, -0.5, v42
	v_add_f16_e32 v13, v16, v13
	v_fma_f16 v16, v17, -0.5, v41
	v_add_f16_e32 v9, v9, v10
	v_fma_f16 v10, v15, s6, v14
	v_fma_f16 v14, v15, s7, v14
	;; [unrolled: 1-line block ×4, first 2 shown]
	v_pack_b32_f16 v9, v9, v13
	v_pack_b32_f16 v12, v12, v14
	;; [unrolled: 1-line block ×3, first 2 shown]
	ds_write2_b32 v11, v9, v12 offset0:8 offset1:158
	ds_write_b32 v7, v10 offset:8400
.LBB0_23:
	s_or_b64 exec, exec, s[4:5]
	v_lshlrev_b32_e32 v7, 2, v0
	v_lshlrev_b64 v[9:10], 2, v[7:8]
	v_mov_b32_e32 v27, s9
	v_add_co_u32_e64 v9, s[2:3], s8, v9
	v_addc_co_u32_e64 v10, s[2:3], v27, v10, s[2:3]
	s_waitcnt lgkmcnt(0)
	s_barrier
	global_load_dwordx4 v[9:12], v[9:10], off offset:1760
	v_add_u32_e32 v13, 0x600, v29
	ds_read2_b32 v[32:33], v13 offset0:66 offset1:156
	v_add_u32_e32 v13, 0xc00, v29
	ds_read2_b32 v[34:35], v13 offset0:42 offset1:132
	;; [unrolled: 2-line block ×3, first 2 shown]
	v_add_u32_e32 v13, 0x1a00, v29
	ds_read_b32 v54, v29
	ds_read2_b32 v[38:39], v13 offset0:46 offset1:136
	ds_read_b32 v56, v31
	v_lshlrev_b32_e32 v13, 2, v4
	v_mov_b32_e32 v14, v8
	v_lshlrev_b64 v[13:14], 2, v[13:14]
	v_add_u32_e32 v17, 0xe00, v29
	v_add_co_u32_e64 v13, s[2:3], s8, v13
	v_addc_co_u32_e64 v14, s[2:3], v27, v14, s[2:3]
	global_load_dwordx4 v[13:16], v[13:14], off offset:1760
	ds_read2_b32 v[40:41], v17 offset0:94 offset1:184
	v_add_u32_e32 v17, 0x1c00, v29
	ds_read2_b32 v[42:43], v17 offset0:98 offset1:188
	v_lshlrev_b32_e32 v17, 2, v6
	v_mov_b32_e32 v18, v8
	v_lshlrev_b64 v[17:18], 2, v[17:18]
	v_add_u32_e32 v21, 0x800, v29
	v_add_co_u32_e64 v17, s[2:3], s8, v17
	v_addc_co_u32_e64 v18, s[2:3], v27, v18, s[2:3]
	global_load_dwordx4 v[17:20], v[17:18], off offset:1760
	ds_read2_b32 v[44:45], v21 offset0:118 offset1:208
	v_add_u32_e32 v21, 0x1600, v29
	ds_read2_b32 v[46:47], v21 offset0:122 offset1:212
	v_lshlrev_b32_e32 v21, 2, v5
	v_mov_b32_e32 v22, v8
	v_lshlrev_b64 v[21:22], 2, v[21:22]
	v_lshlrev_b32_e32 v25, 2, v1
	v_add_co_u32_e64 v21, s[2:3], s8, v21
	v_addc_co_u32_e64 v22, s[2:3], v27, v22, s[2:3]
	v_mov_b32_e32 v26, v8
	global_load_dwordx4 v[21:24], v[21:22], off offset:1760
	v_lshlrev_b64 v[25:26], 2, v[25:26]
	s_waitcnt lgkmcnt(9)
	v_lshrrev_b32_e32 v79, 16, v32
	v_add_co_u32_e64 v25, s[2:3], s8, v25
	v_addc_co_u32_e64 v26, s[2:3], v27, v26, s[2:3]
	global_load_dwordx4 v[25:28], v[25:26], off offset:1760
	s_waitcnt lgkmcnt(5)
	v_lshrrev_b32_e32 v57, 16, v39
	v_lshrrev_b32_e32 v60, 16, v33
	s_waitcnt lgkmcnt(3)
	v_lshrrev_b32_e32 v61, 16, v40
	v_lshrrev_b32_e32 v62, 16, v37
	s_waitcnt lgkmcnt(2)
	v_lshrrev_b32_e32 v63, 16, v42
	s_waitcnt lgkmcnt(1)
	v_lshrrev_b32_e32 v5, 16, v44
	v_lshrrev_b32_e32 v65, 16, v41
	v_add_u32_e32 v69, 0x1000, v29
	ds_read2_b32 v[50:51], v69 offset0:146 offset1:236
	s_waitcnt lgkmcnt(1)
	v_lshrrev_b32_e32 v66, 16, v46
	v_add_u32_e32 v1, 0x2000, v29
	v_lshrrev_b32_e32 v67, 16, v43
	ds_read2_b32 v[52:53], v1 offset0:22 offset1:112
	v_lshrrev_b32_e32 v70, 16, v45
	s_waitcnt lgkmcnt(1)
	v_lshrrev_b32_e32 v71, 16, v50
	v_lshrrev_b32_e32 v72, 16, v47
	v_lshrrev_b32_e32 v75, 16, v34
	s_waitcnt lgkmcnt(0)
	v_lshrrev_b32_e32 v73, 16, v52
	v_lshrrev_b32_e32 v76, 16, v51
	;; [unrolled: 1-line block ×4, first 2 shown]
	s_mov_b32 s3, 0xbb9c
	s_movk_i32 s5, 0x3b9c
	s_mov_b32 s2, 0xb8b4
	s_movk_i32 s6, 0x38b4
	s_movk_i32 s4, 0x34f2
	v_lshrrev_b32_e32 v55, 16, v54
	v_lshrrev_b32_e32 v59, 16, v56
	ds_read_b32 v58, v30
	s_waitcnt vmcnt(4)
	v_mul_f16_sdwa v80, v9, v79 dst_sel:DWORD dst_unused:UNUSED_PAD src0_sel:WORD_1 src1_sel:DWORD
	v_fma_f16 v80, v9, v32, v80
	v_mul_f16_sdwa v32, v9, v32 dst_sel:DWORD dst_unused:UNUSED_PAD src0_sel:WORD_1 src1_sel:DWORD
	v_fma_f16 v9, v9, v79, -v32
	v_lshrrev_b32_e32 v32, 16, v35
	v_mul_f16_sdwa v79, v10, v32 dst_sel:DWORD dst_unused:UNUSED_PAD src0_sel:WORD_1 src1_sel:DWORD
	v_fma_f16 v79, v10, v35, v79
	v_mul_f16_sdwa v35, v10, v35 dst_sel:DWORD dst_unused:UNUSED_PAD src0_sel:WORD_1 src1_sel:DWORD
	v_fma_f16 v10, v10, v32, -v35
	v_lshrrev_b32_e32 v32, 16, v36
	v_mul_f16_sdwa v35, v11, v32 dst_sel:DWORD dst_unused:UNUSED_PAD src0_sel:WORD_1 src1_sel:DWORD
	v_fma_f16 v35, v11, v36, v35
	v_mul_f16_sdwa v36, v11, v36 dst_sel:DWORD dst_unused:UNUSED_PAD src0_sel:WORD_1 src1_sel:DWORD
	v_fma_f16 v11, v11, v32, -v36
	v_mul_f16_sdwa v32, v57, v12 dst_sel:DWORD dst_unused:UNUSED_PAD src0_sel:DWORD src1_sel:WORD_1
	v_mul_f16_sdwa v36, v39, v12 dst_sel:DWORD dst_unused:UNUSED_PAD src0_sel:DWORD src1_sel:WORD_1
	v_fma_f16 v32, v39, v12, v32
	v_fma_f16 v12, v57, v12, -v36
	s_waitcnt vmcnt(3)
	v_mul_f16_sdwa v36, v60, v13 dst_sel:DWORD dst_unused:UNUSED_PAD src0_sel:DWORD src1_sel:WORD_1
	v_fma_f16 v36, v33, v13, v36
	v_mul_f16_sdwa v33, v33, v13 dst_sel:DWORD dst_unused:UNUSED_PAD src0_sel:DWORD src1_sel:WORD_1
	v_fma_f16 v13, v60, v13, -v33
	v_mul_f16_sdwa v33, v61, v14 dst_sel:DWORD dst_unused:UNUSED_PAD src0_sel:DWORD src1_sel:WORD_1
	v_mul_f16_sdwa v39, v40, v14 dst_sel:DWORD dst_unused:UNUSED_PAD src0_sel:DWORD src1_sel:WORD_1
	v_fma_f16 v33, v40, v14, v33
	v_fma_f16 v14, v61, v14, -v39
	v_mul_f16_sdwa v39, v62, v15 dst_sel:DWORD dst_unused:UNUSED_PAD src0_sel:DWORD src1_sel:WORD_1
	v_fma_f16 v39, v37, v15, v39
	v_mul_f16_sdwa v37, v37, v15 dst_sel:DWORD dst_unused:UNUSED_PAD src0_sel:DWORD src1_sel:WORD_1
	v_fma_f16 v15, v62, v15, -v37
	v_mul_f16_sdwa v37, v63, v16 dst_sel:DWORD dst_unused:UNUSED_PAD src0_sel:DWORD src1_sel:WORD_1
	v_mul_f16_sdwa v40, v42, v16 dst_sel:DWORD dst_unused:UNUSED_PAD src0_sel:DWORD src1_sel:WORD_1
	v_fma_f16 v37, v42, v16, v37
	v_fma_f16 v16, v63, v16, -v40
	s_waitcnt vmcnt(2)
	v_mul_f16_sdwa v40, v5, v17 dst_sel:DWORD dst_unused:UNUSED_PAD src0_sel:DWORD src1_sel:WORD_1
	v_mul_f16_sdwa v42, v44, v17 dst_sel:DWORD dst_unused:UNUSED_PAD src0_sel:DWORD src1_sel:WORD_1
	v_fma_f16 v40, v44, v17, v40
	v_fma_f16 v5, v5, v17, -v42
	v_mul_f16_sdwa v17, v65, v18 dst_sel:DWORD dst_unused:UNUSED_PAD src0_sel:DWORD src1_sel:WORD_1
	v_fma_f16 v17, v41, v18, v17
	v_mul_f16_sdwa v41, v41, v18 dst_sel:DWORD dst_unused:UNUSED_PAD src0_sel:DWORD src1_sel:WORD_1
	v_fma_f16 v18, v65, v18, -v41
	v_mul_f16_sdwa v41, v66, v19 dst_sel:DWORD dst_unused:UNUSED_PAD src0_sel:DWORD src1_sel:WORD_1
	v_mul_f16_sdwa v42, v46, v19 dst_sel:DWORD dst_unused:UNUSED_PAD src0_sel:DWORD src1_sel:WORD_1
	v_fma_f16 v41, v46, v19, v41
	v_fma_f16 v19, v66, v19, -v42
	v_mul_f16_sdwa v42, v67, v20 dst_sel:DWORD dst_unused:UNUSED_PAD src0_sel:DWORD src1_sel:WORD_1
	v_fma_f16 v42, v43, v20, v42
	v_mul_f16_sdwa v43, v43, v20 dst_sel:DWORD dst_unused:UNUSED_PAD src0_sel:DWORD src1_sel:WORD_1
	v_fma_f16 v20, v67, v20, -v43
	s_waitcnt vmcnt(1)
	v_mul_f16_sdwa v43, v70, v21 dst_sel:DWORD dst_unused:UNUSED_PAD src0_sel:DWORD src1_sel:WORD_1
	v_mul_f16_sdwa v44, v45, v21 dst_sel:DWORD dst_unused:UNUSED_PAD src0_sel:DWORD src1_sel:WORD_1
	v_fma_f16 v43, v45, v21, v43
	v_fma_f16 v21, v70, v21, -v44
	v_mul_f16_sdwa v44, v71, v22 dst_sel:DWORD dst_unused:UNUSED_PAD src0_sel:DWORD src1_sel:WORD_1
	v_mul_f16_sdwa v45, v50, v22 dst_sel:DWORD dst_unused:UNUSED_PAD src0_sel:DWORD src1_sel:WORD_1
	v_fma_f16 v44, v50, v22, v44
	v_fma_f16 v22, v71, v22, -v45
	;; [unrolled: 4-line block ×4, first 2 shown]
	s_waitcnt vmcnt(0)
	v_mul_f16_sdwa v47, v75, v25 dst_sel:DWORD dst_unused:UNUSED_PAD src0_sel:DWORD src1_sel:WORD_1
	v_fma_f16 v47, v34, v25, v47
	v_mul_f16_sdwa v34, v34, v25 dst_sel:DWORD dst_unused:UNUSED_PAD src0_sel:DWORD src1_sel:WORD_1
	v_fma_f16 v25, v75, v25, -v34
	v_mul_f16_sdwa v34, v76, v26 dst_sel:DWORD dst_unused:UNUSED_PAD src0_sel:DWORD src1_sel:WORD_1
	v_mul_f16_sdwa v50, v51, v26 dst_sel:DWORD dst_unused:UNUSED_PAD src0_sel:DWORD src1_sel:WORD_1
	v_fma_f16 v34, v51, v26, v34
	v_fma_f16 v26, v76, v26, -v50
	v_mul_f16_sdwa v50, v77, v27 dst_sel:DWORD dst_unused:UNUSED_PAD src0_sel:DWORD src1_sel:WORD_1
	v_fma_f16 v50, v38, v27, v50
	v_mul_f16_sdwa v38, v38, v27 dst_sel:DWORD dst_unused:UNUSED_PAD src0_sel:DWORD src1_sel:WORD_1
	v_fma_f16 v27, v77, v27, -v38
	v_mul_f16_sdwa v38, v78, v28 dst_sel:DWORD dst_unused:UNUSED_PAD src0_sel:DWORD src1_sel:WORD_1
	v_add_f16_e32 v52, v79, v35
	v_fma_f16 v38, v53, v28, v38
	v_mul_f16_sdwa v51, v53, v28 dst_sel:DWORD dst_unused:UNUSED_PAD src0_sel:DWORD src1_sel:WORD_1
	v_fma_f16 v52, v52, -0.5, v54
	v_sub_f16_e32 v53, v9, v12
	v_fma_f16 v57, v53, s3, v52
	v_sub_f16_e32 v60, v10, v11
	v_sub_f16_e32 v61, v80, v79
	;; [unrolled: 1-line block ×3, first 2 shown]
	v_fma_f16 v52, v53, s5, v52
	v_fma_f16 v57, v60, s2, v57
	v_add_f16_e32 v61, v61, v62
	v_fma_f16 v52, v60, s6, v52
	v_fma_f16 v28, v78, v28, -v51
	v_add_f16_e32 v51, v54, v80
	v_fma_f16 v57, v61, s4, v57
	v_fma_f16 v52, v61, s4, v52
	v_add_f16_e32 v61, v80, v32
	v_add_f16_e32 v51, v51, v79
	v_fma_f16 v54, v61, -0.5, v54
	v_add_f16_e32 v51, v51, v35
	v_fma_f16 v61, v60, s5, v54
	v_sub_f16_e32 v62, v79, v80
	v_sub_f16_e32 v63, v35, v32
	v_fma_f16 v54, v60, s3, v54
	v_add_f16_e32 v60, v10, v11
	v_add_f16_e32 v51, v51, v32
	v_fma_f16 v61, v53, s2, v61
	v_add_f16_e32 v62, v62, v63
	v_fma_f16 v53, v53, s6, v54
	v_fma_f16 v60, v60, -0.5, v55
	v_sub_f16_e32 v32, v80, v32
	v_fma_f16 v61, v62, s4, v61
	v_fma_f16 v53, v62, s4, v53
	v_fma_f16 v62, v32, s5, v60
	v_sub_f16_e32 v35, v79, v35
	v_sub_f16_e32 v63, v9, v10
	v_sub_f16_e32 v65, v12, v11
	v_fma_f16 v60, v32, s3, v60
	v_add_f16_e32 v54, v55, v9
	v_fma_f16 v62, v35, s6, v62
	v_add_f16_e32 v63, v63, v65
	v_fma_f16 v60, v35, s2, v60
	v_add_f16_e32 v54, v54, v10
	v_fma_f16 v62, v63, s4, v62
	v_fma_f16 v60, v63, s4, v60
	v_add_f16_e32 v63, v9, v12
	v_add_f16_e32 v54, v54, v11
	v_fma_f16 v55, v63, -0.5, v55
	v_add_f16_e32 v54, v54, v12
	v_fma_f16 v63, v35, s3, v55
	v_sub_f16_e32 v9, v10, v9
	v_sub_f16_e32 v10, v11, v12
	v_fma_f16 v11, v35, s5, v55
	v_add_f16_e32 v12, v33, v39
	v_fma_f16 v63, v32, s6, v63
	v_add_f16_e32 v9, v9, v10
	v_fma_f16 v11, v32, s2, v11
	v_fma_f16 v12, v12, -0.5, v56
	v_sub_f16_e32 v32, v13, v16
	v_fma_f16 v10, v9, s4, v63
	v_fma_f16 v35, v32, s3, v12
	v_sub_f16_e32 v55, v14, v15
	v_sub_f16_e32 v63, v36, v33
	v_sub_f16_e32 v65, v37, v39
	v_fma_f16 v12, v32, s5, v12
	v_fma_f16 v35, v55, s2, v35
	v_add_f16_e32 v63, v63, v65
	v_fma_f16 v12, v55, s6, v12
	v_fma_f16 v35, v63, s4, v35
	v_fma_f16 v12, v63, s4, v12
	v_add_f16_e32 v63, v36, v37
	v_fma_f16 v9, v9, s4, v11
	v_add_f16_e32 v11, v56, v36
	v_fma_f16 v56, v63, -0.5, v56
	v_add_f16_e32 v11, v11, v33
	v_fma_f16 v63, v55, s5, v56
	v_sub_f16_e32 v65, v33, v36
	v_sub_f16_e32 v66, v39, v37
	v_fma_f16 v55, v55, s3, v56
	v_add_f16_e32 v56, v14, v15
	v_add_f16_e32 v11, v11, v39
	v_fma_f16 v63, v32, s2, v63
	v_add_f16_e32 v65, v65, v66
	v_fma_f16 v32, v32, s6, v55
	v_fma_f16 v56, v56, -0.5, v59
	v_sub_f16_e32 v36, v36, v37
	v_add_f16_e32 v11, v11, v37
	v_fma_f16 v63, v65, s4, v63
	v_fma_f16 v32, v65, s4, v32
	;; [unrolled: 1-line block ×3, first 2 shown]
	v_sub_f16_e32 v33, v33, v39
	v_sub_f16_e32 v39, v13, v14
	;; [unrolled: 1-line block ×3, first 2 shown]
	v_fma_f16 v56, v36, s3, v56
	v_add_f16_e32 v55, v59, v13
	v_fma_f16 v37, v33, s6, v37
	v_add_f16_e32 v39, v39, v65
	;; [unrolled: 2-line block ×3, first 2 shown]
	v_fma_f16 v37, v39, s4, v37
	v_fma_f16 v39, v39, s4, v56
	v_add_f16_e32 v56, v13, v16
	v_add_f16_e32 v55, v55, v15
	v_fma_f16 v56, v56, -0.5, v59
	v_add_f16_e32 v55, v55, v16
	v_fma_f16 v59, v33, s3, v56
	v_sub_f16_e32 v13, v14, v13
	v_sub_f16_e32 v14, v15, v16
	v_add_f16_e32 v16, v17, v41
	v_fma_f16 v59, v36, s6, v59
	v_add_f16_e32 v13, v13, v14
	v_fma_f16 v15, v33, s5, v56
	s_waitcnt lgkmcnt(0)
	v_fma_f16 v16, v16, -0.5, v58
	v_sub_f16_e32 v33, v5, v20
	v_fma_f16 v14, v13, s4, v59
	v_fma_f16 v15, v36, s2, v15
	;; [unrolled: 1-line block ×3, first 2 shown]
	v_sub_f16_e32 v56, v18, v19
	v_sub_f16_e32 v59, v40, v17
	;; [unrolled: 1-line block ×3, first 2 shown]
	v_fma_f16 v16, v33, s5, v16
	v_fma_f16 v36, v56, s2, v36
	v_add_f16_e32 v59, v59, v65
	v_fma_f16 v16, v56, s6, v16
	v_fma_f16 v36, v59, s4, v36
	;; [unrolled: 1-line block ×3, first 2 shown]
	v_add_f16_e32 v59, v40, v42
	v_lshrrev_b32_e32 v64, 16, v58
	v_fma_f16 v13, v13, s4, v15
	v_add_f16_e32 v15, v58, v40
	v_fma_f16 v58, v59, -0.5, v58
	v_add_f16_e32 v15, v15, v17
	v_fma_f16 v59, v56, s5, v58
	v_fma_f16 v56, v56, s3, v58
	v_add_f16_e32 v58, v18, v19
	v_add_f16_e32 v15, v15, v41
	v_sub_f16_e32 v65, v17, v40
	v_sub_f16_e32 v66, v41, v42
	v_fma_f16 v58, v58, -0.5, v64
	v_sub_f16_e32 v40, v40, v42
	v_add_u32_e32 v68, 0x400, v29
	v_add_f16_e32 v15, v15, v42
	v_fma_f16 v59, v33, s2, v59
	v_add_f16_e32 v65, v65, v66
	v_fma_f16 v33, v33, s6, v56
	v_fma_f16 v42, v40, s5, v58
	v_sub_f16_e32 v17, v17, v41
	ds_read2_b32 v[48:49], v68 offset0:14 offset1:104
	v_fma_f16 v59, v65, s4, v59
	v_fma_f16 v33, v65, s4, v33
	;; [unrolled: 1-line block ×3, first 2 shown]
	v_sub_f16_e32 v42, v5, v18
	v_sub_f16_e32 v65, v20, v19
	v_fma_f16 v58, v40, s3, v58
	v_add_f16_e32 v42, v42, v65
	v_fma_f16 v58, v17, s2, v58
	v_add_f16_e32 v56, v64, v5
	v_fma_f16 v41, v42, s4, v41
	v_fma_f16 v42, v42, s4, v58
	v_add_f16_e32 v58, v5, v20
	v_add_f16_e32 v56, v56, v18
	v_fma_f16 v58, v58, -0.5, v64
	v_add_f16_e32 v56, v56, v19
	v_fma_f16 v64, v17, s3, v58
	v_sub_f16_e32 v5, v18, v5
	v_sub_f16_e32 v18, v19, v20
	v_add_f16_e32 v19, v44, v45
	v_add_f16_e32 v56, v56, v20
	v_fma_f16 v64, v40, s6, v64
	v_add_f16_e32 v5, v5, v18
	v_fma_f16 v17, v17, s5, v58
	s_waitcnt lgkmcnt(0)
	v_fma_f16 v19, v19, -0.5, v48
	v_sub_f16_e32 v20, v21, v24
	v_fma_f16 v18, v5, s4, v64
	v_fma_f16 v17, v40, s2, v17
	;; [unrolled: 1-line block ×3, first 2 shown]
	v_sub_f16_e32 v58, v22, v23
	v_sub_f16_e32 v64, v43, v44
	;; [unrolled: 1-line block ×3, first 2 shown]
	v_fma_f16 v19, v20, s5, v19
	v_fma_f16 v40, v58, s2, v40
	v_add_f16_e32 v64, v64, v65
	v_fma_f16 v19, v58, s6, v19
	v_fma_f16 v40, v64, s4, v40
	;; [unrolled: 1-line block ×3, first 2 shown]
	v_add_f16_e32 v64, v43, v46
	v_lshrrev_b32_e32 v8, 16, v48
	v_fma_f16 v5, v5, s4, v17
	v_add_f16_e32 v17, v48, v43
	v_fma_f16 v48, v64, -0.5, v48
	v_add_f16_e32 v17, v17, v44
	v_fma_f16 v64, v58, s5, v48
	v_fma_f16 v48, v58, s3, v48
	v_add_f16_e32 v58, v22, v23
	v_add_f16_e32 v17, v17, v45
	v_sub_f16_e32 v65, v44, v43
	v_sub_f16_e32 v66, v45, v46
	v_fma_f16 v58, v58, -0.5, v8
	v_sub_f16_e32 v43, v43, v46
	v_add_f16_e32 v17, v17, v46
	v_fma_f16 v64, v20, s2, v64
	v_add_f16_e32 v65, v65, v66
	v_fma_f16 v20, v20, s6, v48
	v_fma_f16 v46, v43, s5, v58
	v_sub_f16_e32 v44, v44, v45
	v_fma_f16 v64, v65, s4, v64
	v_fma_f16 v20, v65, s4, v20
	;; [unrolled: 1-line block ×3, first 2 shown]
	v_sub_f16_e32 v46, v21, v22
	v_sub_f16_e32 v65, v24, v23
	v_fma_f16 v58, v43, s3, v58
	v_add_f16_e32 v46, v46, v65
	v_fma_f16 v58, v44, s2, v58
	v_add_f16_e32 v48, v8, v21
	v_fma_f16 v45, v46, s4, v45
	v_fma_f16 v46, v46, s4, v58
	v_add_f16_e32 v58, v21, v24
	v_add_f16_e32 v48, v48, v22
	v_fma_f16 v8, v58, -0.5, v8
	v_add_f16_e32 v48, v48, v23
	v_fma_f16 v58, v44, s3, v8
	v_sub_f16_e32 v21, v22, v21
	v_sub_f16_e32 v22, v23, v24
	v_add_f16_e32 v23, v34, v50
	v_add_f16_e32 v48, v48, v24
	v_fma_f16 v58, v43, s6, v58
	v_add_f16_e32 v21, v21, v22
	v_fma_f16 v8, v44, s5, v8
	v_fma_f16 v23, v23, -0.5, v49
	v_sub_f16_e32 v24, v25, v28
	v_fma_f16 v22, v21, s4, v58
	v_fma_f16 v8, v43, s2, v8
	;; [unrolled: 1-line block ×3, first 2 shown]
	v_sub_f16_e32 v44, v26, v27
	v_sub_f16_e32 v58, v47, v34
	;; [unrolled: 1-line block ×3, first 2 shown]
	v_fma_f16 v23, v24, s5, v23
	v_fma_f16 v43, v44, s2, v43
	v_add_f16_e32 v58, v58, v65
	v_fma_f16 v23, v44, s6, v23
	v_fma_f16 v8, v21, s4, v8
	v_add_f16_e32 v21, v49, v47
	;; [unrolled: 3-line block ×3, first 2 shown]
	v_lshrrev_b32_e32 v74, 16, v49
	v_add_f16_e32 v21, v21, v34
	v_fma_f16 v49, v58, -0.5, v49
	v_add_f16_e32 v21, v21, v50
	v_fma_f16 v58, v44, s5, v49
	v_sub_f16_e32 v65, v34, v47
	v_sub_f16_e32 v66, v50, v38
	v_fma_f16 v44, v44, s3, v49
	v_add_f16_e32 v49, v26, v27
	v_add_f16_e32 v21, v21, v38
	v_fma_f16 v58, v24, s2, v58
	v_add_f16_e32 v65, v65, v66
	v_fma_f16 v24, v24, s6, v44
	v_fma_f16 v49, v49, -0.5, v74
	v_sub_f16_e32 v38, v47, v38
	v_fma_f16 v58, v65, s4, v58
	v_fma_f16 v24, v65, s4, v24
	;; [unrolled: 1-line block ×3, first 2 shown]
	v_sub_f16_e32 v34, v34, v50
	v_sub_f16_e32 v50, v25, v26
	;; [unrolled: 1-line block ×3, first 2 shown]
	v_fma_f16 v49, v38, s3, v49
	v_fma_f16 v47, v34, s6, v47
	v_add_f16_e32 v50, v50, v65
	v_fma_f16 v49, v34, s2, v49
	v_add_f16_e32 v44, v74, v25
	v_fma_f16 v47, v50, s4, v47
	v_fma_f16 v49, v50, s4, v49
	v_add_f16_e32 v50, v25, v28
	v_add_f16_e32 v44, v44, v26
	v_fma_f16 v50, v50, -0.5, v74
	v_add_f16_e32 v44, v44, v27
	v_fma_f16 v65, v34, s3, v50
	v_sub_f16_e32 v25, v26, v25
	v_sub_f16_e32 v26, v27, v28
	v_fma_f16 v27, v34, s5, v50
	v_fma_f16 v65, v38, s6, v65
	v_add_f16_e32 v25, v25, v26
	v_fma_f16 v27, v38, s2, v27
	v_pack_b32_f16 v9, v53, v9
	v_fma_f16 v26, v25, s4, v65
	v_fma_f16 v25, v25, s4, v27
	s_barrier
	v_pack_b32_f16 v27, v51, v54
	ds_write_b32 v29, v9 offset:5400
	v_pack_b32_f16 v9, v52, v60
	ds_write_b32 v29, v27
	v_pack_b32_f16 v27, v57, v62
	v_pack_b32_f16 v10, v61, v10
	ds_write_b32 v29, v9 offset:7200
	v_pack_b32_f16 v9, v11, v55
	ds_write_b32 v29, v27 offset:1800
	ds_write_b32 v29, v10 offset:3600
	ds_write_b32 v31, v9
	v_pack_b32_f16 v9, v35, v37
	ds_write_b32 v31, v9 offset:1800
	v_pack_b32_f16 v9, v63, v14
	ds_write_b32 v31, v9 offset:3600
	;; [unrolled: 2-line block ×4, first 2 shown]
	v_pack_b32_f16 v9, v15, v56
	v_pack_b32_f16 v5, v33, v5
	v_add_f16_e32 v44, v44, v28
	ds_write_b32 v30, v9
	v_pack_b32_f16 v9, v36, v41
	ds_write_b32 v30, v5 offset:5400
	v_pack_b32_f16 v5, v16, v42
	ds_write_b32 v30, v9 offset:1800
	;; [unrolled: 2-line block ×3, first 2 shown]
	v_pack_b32_f16 v5, v17, v48
	v_pack_b32_f16 v12, v21, v44
	ds_write_b32 v30, v9 offset:3600
	v_pack_b32_f16 v9, v40, v45
	ds_write2_b32 v68, v5, v12 offset0:14 offset1:104
	v_pack_b32_f16 v5, v43, v47
	v_add_u32_e32 v12, 0xa00, v29
	v_pack_b32_f16 v10, v64, v22
	ds_write2_b32 v12, v9, v5 offset0:80 offset1:170
	v_pack_b32_f16 v5, v58, v26
	v_pack_b32_f16 v8, v20, v8
	ds_write2_b32 v69, v10, v5 offset0:146 offset1:236
	v_pack_b32_f16 v5, v24, v25
	v_add_u32_e32 v9, 0x1800, v29
	v_pack_b32_f16 v11, v19, v46
	ds_write2_b32 v9, v8, v5 offset0:84 offset1:174
	v_pack_b32_f16 v5, v23, v49
	ds_write2_b32 v1, v11, v5 offset0:22 offset1:112
	s_waitcnt lgkmcnt(0)
	s_barrier
	ds_read_b32 v5, v29
	s_add_u32 s6, s8, 0x2300
	s_addc_u32 s7, s9, 0
	v_sub_u32_e32 v10, 0, v7
	v_cmp_ne_u32_e64 s[2:3], 0, v0
                                        ; implicit-def: $vgpr13
                                        ; implicit-def: $vgpr12
                                        ; implicit-def: $vgpr11
                                        ; implicit-def: $vgpr8_vgpr9
	s_and_saveexec_b64 s[4:5], s[2:3]
	s_xor_b64 s[4:5], exec, s[4:5]
	s_cbranch_execz .LBB0_25
; %bb.24:
	v_mov_b32_e32 v1, 0
	v_lshlrev_b64 v[7:8], 2, v[0:1]
	v_mov_b32_e32 v9, s7
	v_add_co_u32_e64 v7, s[2:3], s6, v7
	v_addc_co_u32_e64 v8, s[2:3], v9, v8, s[2:3]
	global_load_dword v7, v[7:8], off
	ds_read_b32 v8, v10 offset:9000
	s_waitcnt lgkmcnt(0)
	v_add_f16_sdwa v11, v8, v5 dst_sel:DWORD dst_unused:UNUSED_PAD src0_sel:WORD_1 src1_sel:WORD_1
	v_sub_f16_e32 v12, v5, v8
	v_add_f16_e32 v9, v8, v5
	v_sub_f16_sdwa v5, v5, v8 dst_sel:DWORD dst_unused:UNUSED_PAD src0_sel:WORD_1 src1_sel:WORD_1
	v_mul_f16_e32 v8, 0.5, v11
	v_mul_f16_e32 v12, 0.5, v12
	;; [unrolled: 1-line block ×3, first 2 shown]
	s_waitcnt vmcnt(0)
	v_lshrrev_b32_e32 v11, 16, v7
	v_mul_f16_e32 v13, v11, v12
	v_fma_f16 v14, v8, v11, v5
	v_fma_f16 v5, v8, v11, -v5
	v_fma_f16 v15, v9, 0.5, v13
	v_fma_f16 v9, v9, 0.5, -v13
	v_fma_f16 v11, -v7, v12, v14
	v_fma_f16 v13, -v7, v12, v5
	v_fma_f16 v5, v7, v8, v15
	v_fma_f16 v12, -v7, v8, v9
	v_mov_b32_e32 v9, v1
	ds_write_b16 v29, v5
	v_mov_b32_e32 v8, v0
                                        ; implicit-def: $vgpr5
.LBB0_25:
	s_andn2_saveexec_b64 s[2:3], s[4:5]
	s_cbranch_execz .LBB0_27
; %bb.26:
	v_mov_b32_e32 v11, 0
	ds_read_u16 v1, v11 offset:4502
	v_mov_b32_e32 v8, 0
	s_waitcnt lgkmcnt(1)
	v_add_f16_sdwa v7, v5, v5 dst_sel:DWORD dst_unused:UNUSED_PAD src0_sel:WORD_1 src1_sel:DWORD
	v_sub_f16_sdwa v12, v5, v5 dst_sel:DWORD dst_unused:UNUSED_PAD src0_sel:DWORD src1_sel:WORD_1
	v_mov_b32_e32 v9, 0
	s_waitcnt lgkmcnt(0)
	v_xor_b32_e32 v1, 0x8000, v1
	v_mov_b32_e32 v13, 0
	ds_write_b16 v29, v7
	ds_write_b16 v11, v1 offset:4502
.LBB0_27:
	s_or_b64 exec, exec, s[2:3]
	s_waitcnt lgkmcnt(0)
	v_mov_b32_e32 v5, 0
	v_lshlrev_b64 v[14:15], 2, v[4:5]
	v_mov_b32_e32 v1, s7
	v_add_co_u32_e64 v14, s[2:3], s6, v14
	v_addc_co_u32_e64 v15, s[2:3], v1, v15, s[2:3]
	global_load_dword v1, v[14:15], off
	v_mov_b32_e32 v7, v5
	v_lshlrev_b64 v[4:5], 2, v[6:7]
	v_mov_b32_e32 v14, s7
	v_add_co_u32_e64 v4, s[2:3], s6, v4
	v_addc_co_u32_e64 v5, s[2:3], v14, v5, s[2:3]
	global_load_dword v14, v[4:5], off
	v_lshlrev_b64 v[4:5], 2, v[8:9]
	v_mov_b32_e32 v7, s7
	v_add_co_u32_e64 v6, s[2:3], s6, v4
	v_addc_co_u32_e64 v7, s[2:3], v7, v5, s[2:3]
	global_load_dword v8, v[6:7], off offset:1080
	s_mov_b32 s2, 0x5040100
	v_perm_b32 v9, v13, v12, s2
	global_load_dword v12, v[6:7], off offset:1440
	ds_write_b16 v29, v11 offset:2
	ds_write_b32 v10, v9 offset:9000
	ds_read_b32 v11, v10 offset:8640
	ds_read_b32 v9, v31
	s_mov_b32 s4, 0xffff
	s_waitcnt lgkmcnt(0)
	v_pk_add_f16 v13, v9, v11 neg_lo:[0,1] neg_hi:[0,1]
	v_pk_add_f16 v9, v9, v11
	v_bfi_b32 v11, s4, v13, v9
	v_bfi_b32 v9, s4, v9, v13
	v_pk_mul_f16 v11, v11, 0.5 op_sel_hi:[1,0]
	v_pk_mul_f16 v9, v9, 0.5 op_sel_hi:[1,0]
	s_waitcnt vmcnt(3)
	v_pk_fma_f16 v13, v1, v11, v9 op_sel:[1,0,0]
	v_pk_mul_f16 v15, v1, v11 op_sel_hi:[0,1]
	v_pk_fma_f16 v16, v1, v11, v9 op_sel:[1,0,0] neg_lo:[1,0,0] neg_hi:[1,0,0]
	v_pk_fma_f16 v1, v1, v11, v9 op_sel:[1,0,0] neg_lo:[0,0,1] neg_hi:[0,0,1]
	v_pk_add_f16 v9, v13, v15 op_sel:[0,1] op_sel_hi:[1,0]
	v_pk_add_f16 v11, v13, v15 op_sel:[0,1] op_sel_hi:[1,0] neg_lo:[0,1] neg_hi:[0,1]
	v_pk_add_f16 v13, v16, v15 op_sel:[0,1] op_sel_hi:[1,0] neg_lo:[0,1] neg_hi:[0,1]
	;; [unrolled: 1-line block ×3, first 2 shown]
	v_bfi_b32 v9, s4, v9, v11
	v_bfi_b32 v1, s4, v13, v1
	ds_write_b32 v31, v9
	ds_write_b32 v10, v1 offset:8640
	ds_read_b32 v1, v30
	ds_read_b32 v9, v10 offset:8280
	global_load_dword v11, v[6:7], off offset:1800
	s_waitcnt lgkmcnt(0)
	v_pk_add_f16 v13, v1, v9 neg_lo:[0,1] neg_hi:[0,1]
	v_pk_add_f16 v1, v1, v9
	v_bfi_b32 v9, s4, v13, v1
	v_bfi_b32 v1, s4, v1, v13
	v_pk_mul_f16 v9, v9, 0.5 op_sel_hi:[1,0]
	v_pk_mul_f16 v1, v1, 0.5 op_sel_hi:[1,0]
	s_waitcnt vmcnt(3)
	v_pk_fma_f16 v13, v14, v9, v1 op_sel:[1,0,0]
	v_pk_mul_f16 v15, v14, v9 op_sel_hi:[0,1]
	v_pk_fma_f16 v16, v14, v9, v1 op_sel:[1,0,0] neg_lo:[1,0,0] neg_hi:[1,0,0]
	v_pk_fma_f16 v1, v14, v9, v1 op_sel:[1,0,0] neg_lo:[0,0,1] neg_hi:[0,0,1]
	v_pk_add_f16 v9, v13, v15 op_sel:[0,1] op_sel_hi:[1,0]
	v_pk_add_f16 v13, v13, v15 op_sel:[0,1] op_sel_hi:[1,0] neg_lo:[0,1] neg_hi:[0,1]
	v_pk_add_f16 v14, v16, v15 op_sel:[0,1] op_sel_hi:[1,0] neg_lo:[0,1] neg_hi:[0,1]
	;; [unrolled: 1-line block ×3, first 2 shown]
	v_bfi_b32 v9, s4, v9, v13
	v_bfi_b32 v1, s4, v14, v1
	ds_write_b32 v30, v9
	ds_write_b32 v10, v1 offset:8280
	ds_read_b32 v1, v29 offset:1080
	ds_read_b32 v9, v10 offset:7920
	global_load_dword v13, v[6:7], off offset:2160
	global_load_dword v14, v[6:7], off offset:2520
	;; [unrolled: 1-line block ×5, first 2 shown]
	s_waitcnt lgkmcnt(0)
	v_pk_add_f16 v18, v1, v9 neg_lo:[0,1] neg_hi:[0,1]
	v_pk_add_f16 v1, v1, v9
	v_bfi_b32 v9, s4, v18, v1
	v_bfi_b32 v1, s4, v1, v18
	v_pk_mul_f16 v9, v9, 0.5 op_sel_hi:[1,0]
	v_pk_mul_f16 v1, v1, 0.5 op_sel_hi:[1,0]
	s_waitcnt vmcnt(7)
	v_pk_fma_f16 v18, v8, v9, v1 op_sel:[1,0,0]
	v_pk_mul_f16 v19, v8, v9 op_sel_hi:[0,1]
	v_pk_fma_f16 v20, v8, v9, v1 op_sel:[1,0,0] neg_lo:[1,0,0] neg_hi:[1,0,0]
	v_pk_fma_f16 v1, v8, v9, v1 op_sel:[1,0,0] neg_lo:[0,0,1] neg_hi:[0,0,1]
	v_pk_add_f16 v8, v18, v19 op_sel:[0,1] op_sel_hi:[1,0]
	v_pk_add_f16 v9, v18, v19 op_sel:[0,1] op_sel_hi:[1,0] neg_lo:[0,1] neg_hi:[0,1]
	v_pk_add_f16 v18, v20, v19 op_sel:[0,1] op_sel_hi:[1,0] neg_lo:[0,1] neg_hi:[0,1]
	v_pk_add_f16 v1, v1, v19 op_sel:[0,1] op_sel_hi:[1,0] neg_lo:[0,1] neg_hi:[0,1]
	v_bfi_b32 v8, s4, v8, v9
	v_bfi_b32 v1, s4, v18, v1
	ds_write_b32 v29, v8 offset:1080
	ds_write_b32 v10, v1 offset:7920
	ds_read_b32 v1, v29 offset:1440
	ds_read_b32 v8, v10 offset:7560
	s_waitcnt lgkmcnt(0)
	v_pk_add_f16 v9, v1, v8 neg_lo:[0,1] neg_hi:[0,1]
	v_pk_add_f16 v1, v1, v8
	v_bfi_b32 v8, s4, v9, v1
	v_bfi_b32 v1, s4, v1, v9
	v_pk_mul_f16 v8, v8, 0.5 op_sel_hi:[1,0]
	v_pk_mul_f16 v1, v1, 0.5 op_sel_hi:[1,0]
	s_waitcnt vmcnt(6)
	v_pk_fma_f16 v9, v12, v8, v1 op_sel:[1,0,0]
	v_pk_mul_f16 v18, v12, v8 op_sel_hi:[0,1]
	v_pk_fma_f16 v19, v12, v8, v1 op_sel:[1,0,0] neg_lo:[1,0,0] neg_hi:[1,0,0]
	v_pk_fma_f16 v1, v12, v8, v1 op_sel:[1,0,0] neg_lo:[0,0,1] neg_hi:[0,0,1]
	v_pk_add_f16 v8, v9, v18 op_sel:[0,1] op_sel_hi:[1,0]
	v_pk_add_f16 v9, v9, v18 op_sel:[0,1] op_sel_hi:[1,0] neg_lo:[0,1] neg_hi:[0,1]
	v_pk_add_f16 v12, v19, v18 op_sel:[0,1] op_sel_hi:[1,0] neg_lo:[0,1] neg_hi:[0,1]
	v_pk_add_f16 v1, v1, v18 op_sel:[0,1] op_sel_hi:[1,0] neg_lo:[0,1] neg_hi:[0,1]
	v_bfi_b32 v8, s4, v8, v9
	v_bfi_b32 v1, s4, v12, v1
	ds_write_b32 v29, v8 offset:1440
	ds_write_b32 v10, v1 offset:7560
	ds_read_b32 v1, v29 offset:1800
	ds_read_b32 v8, v10 offset:7200
	;; [unrolled: 22-line block ×3, first 2 shown]
	s_waitcnt lgkmcnt(0)
	v_pk_add_f16 v9, v1, v8 neg_lo:[0,1] neg_hi:[0,1]
	v_pk_add_f16 v1, v1, v8
	v_bfi_b32 v8, s4, v9, v1
	v_bfi_b32 v1, s4, v1, v9
	v_pk_mul_f16 v8, v8, 0.5 op_sel_hi:[1,0]
	v_pk_mul_f16 v1, v1, 0.5 op_sel_hi:[1,0]
	s_waitcnt vmcnt(4)
	v_pk_fma_f16 v9, v13, v8, v1 op_sel:[1,0,0]
	v_pk_mul_f16 v11, v13, v8 op_sel_hi:[0,1]
	v_pk_add_f16 v12, v9, v11 op_sel:[0,1] op_sel_hi:[1,0]
	v_pk_add_f16 v9, v9, v11 op_sel:[0,1] op_sel_hi:[1,0] neg_lo:[0,1] neg_hi:[0,1]
	v_bfi_b32 v9, s4, v12, v9
	ds_write_b32 v29, v9 offset:2160
	v_pk_fma_f16 v9, v13, v8, v1 op_sel:[1,0,0] neg_lo:[1,0,0] neg_hi:[1,0,0]
	v_pk_fma_f16 v1, v13, v8, v1 op_sel:[1,0,0] neg_lo:[0,0,1] neg_hi:[0,0,1]
	v_pk_add_f16 v9, v9, v11 op_sel:[0,1] op_sel_hi:[1,0] neg_lo:[0,1] neg_hi:[0,1]
	v_pk_add_f16 v1, v1, v11 op_sel:[0,1] op_sel_hi:[1,0] neg_lo:[0,1] neg_hi:[0,1]
	v_bfi_b32 v1, s4, v9, v1
	ds_write_b32 v10, v1 offset:6840
	ds_read_b32 v1, v29 offset:2520
	ds_read_b32 v8, v10 offset:6480
	s_waitcnt lgkmcnt(0)
	v_pk_add_f16 v9, v1, v8 neg_lo:[0,1] neg_hi:[0,1]
	v_pk_add_f16 v1, v1, v8
	v_bfi_b32 v8, s4, v9, v1
	v_bfi_b32 v1, s4, v1, v9
	v_pk_mul_f16 v8, v8, 0.5 op_sel_hi:[1,0]
	v_pk_mul_f16 v1, v1, 0.5 op_sel_hi:[1,0]
	s_waitcnt vmcnt(3)
	v_pk_fma_f16 v9, v14, v8, v1 op_sel:[1,0,0]
	v_pk_mul_f16 v11, v14, v8 op_sel_hi:[0,1]
	v_pk_add_f16 v12, v9, v11 op_sel:[0,1] op_sel_hi:[1,0]
	v_pk_add_f16 v9, v9, v11 op_sel:[0,1] op_sel_hi:[1,0] neg_lo:[0,1] neg_hi:[0,1]
	v_bfi_b32 v9, s4, v12, v9
	ds_write_b32 v29, v9 offset:2520
	v_pk_fma_f16 v9, v14, v8, v1 op_sel:[1,0,0] neg_lo:[1,0,0] neg_hi:[1,0,0]
	v_pk_fma_f16 v1, v14, v8, v1 op_sel:[1,0,0] neg_lo:[0,0,1] neg_hi:[0,0,1]
	v_pk_add_f16 v9, v9, v11 op_sel:[0,1] op_sel_hi:[1,0] neg_lo:[0,1] neg_hi:[0,1]
	v_pk_add_f16 v1, v1, v11 op_sel:[0,1] op_sel_hi:[1,0] neg_lo:[0,1] neg_hi:[0,1]
	v_bfi_b32 v1, s4, v9, v1
	ds_write_b32 v10, v1 offset:6480
	ds_read_b32 v1, v29 offset:2880
	ds_read_b32 v8, v10 offset:6120
	global_load_dword v9, v[6:7], off offset:3960
	s_waitcnt lgkmcnt(0)
	v_pk_add_f16 v11, v1, v8 neg_lo:[0,1] neg_hi:[0,1]
	v_pk_add_f16 v1, v1, v8
	v_bfi_b32 v8, s4, v11, v1
	v_bfi_b32 v1, s4, v1, v11
	v_pk_mul_f16 v8, v8, 0.5 op_sel_hi:[1,0]
	v_pk_mul_f16 v1, v1, 0.5 op_sel_hi:[1,0]
	s_waitcnt vmcnt(3)
	v_pk_fma_f16 v11, v15, v8, v1 op_sel:[1,0,0]
	v_pk_mul_f16 v12, v15, v8 op_sel_hi:[0,1]
	v_pk_add_f16 v13, v11, v12 op_sel:[0,1] op_sel_hi:[1,0]
	v_pk_add_f16 v11, v11, v12 op_sel:[0,1] op_sel_hi:[1,0] neg_lo:[0,1] neg_hi:[0,1]
	v_bfi_b32 v11, s4, v13, v11
	ds_write_b32 v29, v11 offset:2880
	v_pk_fma_f16 v11, v15, v8, v1 op_sel:[1,0,0] neg_lo:[1,0,0] neg_hi:[1,0,0]
	v_pk_fma_f16 v1, v15, v8, v1 op_sel:[1,0,0] neg_lo:[0,0,1] neg_hi:[0,0,1]
	v_pk_add_f16 v11, v11, v12 op_sel:[0,1] op_sel_hi:[1,0] neg_lo:[0,1] neg_hi:[0,1]
	v_pk_add_f16 v1, v1, v12 op_sel:[0,1] op_sel_hi:[1,0] neg_lo:[0,1] neg_hi:[0,1]
	v_bfi_b32 v1, s4, v11, v1
	ds_write_b32 v10, v1 offset:6120
	ds_read_b32 v1, v29 offset:3240
	ds_read_b32 v8, v10 offset:5760
	s_waitcnt lgkmcnt(0)
	v_pk_add_f16 v11, v1, v8 neg_lo:[0,1] neg_hi:[0,1]
	v_pk_add_f16 v1, v1, v8
	v_bfi_b32 v8, s4, v11, v1
	v_bfi_b32 v1, s4, v1, v11
	v_pk_mul_f16 v8, v8, 0.5 op_sel_hi:[1,0]
	v_pk_mul_f16 v1, v1, 0.5 op_sel_hi:[1,0]
	s_waitcnt vmcnt(2)
	v_pk_fma_f16 v11, v16, v8, v1 op_sel:[1,0,0]
	v_pk_mul_f16 v12, v16, v8 op_sel_hi:[0,1]
	v_pk_add_f16 v13, v11, v12 op_sel:[0,1] op_sel_hi:[1,0]
	v_pk_add_f16 v11, v11, v12 op_sel:[0,1] op_sel_hi:[1,0] neg_lo:[0,1] neg_hi:[0,1]
	v_bfi_b32 v11, s4, v13, v11
	ds_write_b32 v29, v11 offset:3240
	v_pk_fma_f16 v11, v16, v8, v1 op_sel:[1,0,0] neg_lo:[1,0,0] neg_hi:[1,0,0]
	v_pk_fma_f16 v1, v16, v8, v1 op_sel:[1,0,0] neg_lo:[0,0,1] neg_hi:[0,0,1]
	v_pk_add_f16 v11, v11, v12 op_sel:[0,1] op_sel_hi:[1,0] neg_lo:[0,1] neg_hi:[0,1]
	v_pk_add_f16 v1, v1, v12 op_sel:[0,1] op_sel_hi:[1,0] neg_lo:[0,1] neg_hi:[0,1]
	v_bfi_b32 v1, s4, v11, v1
	ds_write_b32 v10, v1 offset:5760
	ds_read_b32 v1, v29 offset:3600
	ds_read_b32 v8, v10 offset:5400
	;; [unrolled: 22-line block ×3, first 2 shown]
	s_waitcnt lgkmcnt(0)
	v_pk_add_f16 v11, v1, v8 neg_lo:[0,1] neg_hi:[0,1]
	v_pk_add_f16 v1, v1, v8
	v_bfi_b32 v8, s4, v11, v1
	v_bfi_b32 v1, s4, v1, v11
	v_pk_mul_f16 v8, v8, 0.5 op_sel_hi:[1,0]
	v_pk_mul_f16 v1, v1, 0.5 op_sel_hi:[1,0]
	s_waitcnt vmcnt(0)
	v_pk_fma_f16 v11, v9, v8, v1 op_sel:[1,0,0]
	v_pk_mul_f16 v12, v9, v8 op_sel_hi:[0,1]
	v_pk_add_f16 v13, v11, v12 op_sel:[0,1] op_sel_hi:[1,0]
	v_pk_add_f16 v11, v11, v12 op_sel:[0,1] op_sel_hi:[1,0] neg_lo:[0,1] neg_hi:[0,1]
	v_bfi_b32 v11, s4, v13, v11
	ds_write_b32 v29, v11 offset:3960
	v_pk_fma_f16 v11, v9, v8, v1 op_sel:[1,0,0] neg_lo:[1,0,0] neg_hi:[1,0,0]
	v_pk_fma_f16 v1, v9, v8, v1 op_sel:[1,0,0] neg_lo:[0,0,1] neg_hi:[0,0,1]
	v_pk_add_f16 v11, v11, v12 op_sel:[0,1] op_sel_hi:[1,0] neg_lo:[0,1] neg_hi:[0,1]
	v_pk_add_f16 v1, v1, v12 op_sel:[0,1] op_sel_hi:[1,0] neg_lo:[0,1] neg_hi:[0,1]
	v_bfi_b32 v1, s4, v11, v1
	ds_write_b32 v10, v1 offset:5040
	s_and_saveexec_b64 s[2:3], vcc
	s_cbranch_execz .LBB0_29
; %bb.28:
	v_add_co_u32_e32 v6, vcc, 0x1000, v6
	v_addc_co_u32_e32 v7, vcc, 0, v7, vcc
	global_load_dword v1, v[6:7], off offset:224
	ds_read_b32 v6, v29 offset:4320
	ds_read_b32 v7, v10 offset:4680
	s_waitcnt lgkmcnt(0)
	v_pk_add_f16 v8, v6, v7 neg_lo:[0,1] neg_hi:[0,1]
	v_pk_add_f16 v6, v6, v7
	v_bfi_b32 v7, s4, v8, v6
	v_bfi_b32 v6, s4, v6, v8
	v_pk_mul_f16 v7, v7, 0.5 op_sel_hi:[1,0]
	v_pk_mul_f16 v6, v6, 0.5 op_sel_hi:[1,0]
	s_waitcnt vmcnt(0)
	v_pk_fma_f16 v8, v1, v7, v6 op_sel:[1,0,0]
	v_pk_mul_f16 v9, v1, v7 op_sel_hi:[0,1]
	v_pk_fma_f16 v11, v1, v7, v6 op_sel:[1,0,0] neg_lo:[1,0,0] neg_hi:[1,0,0]
	v_pk_fma_f16 v1, v1, v7, v6 op_sel:[1,0,0] neg_lo:[0,0,1] neg_hi:[0,0,1]
	v_pk_add_f16 v6, v8, v9 op_sel:[0,1] op_sel_hi:[1,0]
	v_pk_add_f16 v7, v8, v9 op_sel:[0,1] op_sel_hi:[1,0] neg_lo:[0,1] neg_hi:[0,1]
	v_pk_add_f16 v8, v11, v9 op_sel:[0,1] op_sel_hi:[1,0] neg_lo:[0,1] neg_hi:[0,1]
	;; [unrolled: 1-line block ×3, first 2 shown]
	v_bfi_b32 v6, s4, v6, v7
	v_bfi_b32 v1, s4, v8, v1
	ds_write_b32 v29, v6 offset:4320
	ds_write_b32 v10, v1 offset:4680
.LBB0_29:
	s_or_b64 exec, exec, s[2:3]
	s_waitcnt lgkmcnt(0)
	s_barrier
	s_and_saveexec_b64 s[2:3], s[0:1]
	s_cbranch_execz .LBB0_32
; %bb.30:
	v_mov_b32_e32 v1, s13
	v_add_co_u32_e32 v2, vcc, s12, v2
	v_addc_co_u32_e32 v1, vcc, v1, v3, vcc
	ds_read2_b32 v[6:7], v29 offset1:90
	v_add_co_u32_e32 v3, vcc, v2, v4
	v_addc_co_u32_e32 v4, vcc, v1, v5, vcc
	v_add_u32_e32 v5, 0x200, v29
	ds_read2_b32 v[8:9], v5 offset0:52 offset1:142
	v_add_u32_e32 v5, 0x400, v29
	ds_read2_b32 v[10:11], v5 offset0:104 offset1:194
	s_waitcnt lgkmcnt(2)
	global_store_dword v[3:4], v6, off
	global_store_dword v[3:4], v7, off offset:360
	s_waitcnt lgkmcnt(1)
	global_store_dword v[3:4], v8, off offset:720
	global_store_dword v[3:4], v9, off offset:1080
	s_waitcnt lgkmcnt(0)
	global_store_dword v[3:4], v10, off offset:1440
	global_store_dword v[3:4], v11, off offset:1800
	v_add_u32_e32 v5, 0x800, v29
	ds_read2_b32 v[5:6], v5 offset0:28 offset1:118
	v_add_u32_e32 v7, 0xa00, v29
	ds_read2_b32 v[7:8], v7 offset0:80 offset1:170
	;; [unrolled: 2-line block ×3, first 2 shown]
	s_waitcnt lgkmcnt(2)
	global_store_dword v[3:4], v5, off offset:2160
	global_store_dword v[3:4], v6, off offset:2520
	s_waitcnt lgkmcnt(1)
	global_store_dword v[3:4], v7, off offset:2880
	global_store_dword v[3:4], v8, off offset:3240
	;; [unrolled: 3-line block ×3, first 2 shown]
	v_add_u32_e32 v5, 0x1000, v29
	ds_read2_b32 v[5:6], v5 offset0:56 offset1:146
	v_add_u32_e32 v9, 0x1200, v29
	s_movk_i32 s0, 0x1000
	ds_read2_b32 v[9:10], v9 offset0:108 offset1:198
	v_add_co_u32_e32 v7, vcc, s0, v3
	v_add_u32_e32 v11, 0x1400, v29
	v_addc_co_u32_e32 v8, vcc, 0, v4, vcc
	ds_read2_b32 v[11:12], v11 offset0:160 offset1:250
	s_waitcnt lgkmcnt(2)
	global_store_dword v[7:8], v5, off offset:224
	global_store_dword v[7:8], v6, off offset:584
	s_waitcnt lgkmcnt(1)
	global_store_dword v[7:8], v9, off offset:944
	global_store_dword v[7:8], v10, off offset:1304
	;; [unrolled: 3-line block ×3, first 2 shown]
	v_add_u32_e32 v5, 0x1800, v29
	ds_read2_b32 v[5:6], v5 offset0:84 offset1:174
	v_add_u32_e32 v9, 0x1c00, v29
	ds_read2_b32 v[9:10], v9 offset0:8 offset1:98
	;; [unrolled: 2-line block ×3, first 2 shown]
	s_waitcnt lgkmcnt(2)
	global_store_dword v[7:8], v5, off offset:2384
	global_store_dword v[7:8], v6, off offset:2744
	s_waitcnt lgkmcnt(1)
	global_store_dword v[7:8], v9, off offset:3104
	global_store_dword v[7:8], v10, off offset:3464
	s_waitcnt lgkmcnt(0)
	global_store_dword v[7:8], v11, off offset:3824
	ds_read_b32 v5, v29 offset:8640
	v_add_co_u32_e32 v3, vcc, 0x2000, v3
	v_addc_co_u32_e32 v4, vcc, 0, v4, vcc
	s_movk_i32 s0, 0x59
	v_cmp_eq_u32_e32 vcc, s0, v0
	global_store_dword v[3:4], v12, off offset:88
	s_waitcnt lgkmcnt(0)
	global_store_dword v[3:4], v5, off offset:448
	s_and_b64 exec, exec, vcc
	s_cbranch_execz .LBB0_32
; %bb.31:
	v_mov_b32_e32 v0, 0
	ds_read_b32 v3, v0 offset:9000
	v_add_co_u32_e32 v0, vcc, 0x2000, v2
	v_addc_co_u32_e32 v1, vcc, 0, v1, vcc
	s_waitcnt lgkmcnt(0)
	global_store_dword v[0:1], v3, off offset:808
.LBB0_32:
	s_endpgm
	.section	.rodata,"a",@progbits
	.p2align	6, 0x0
	.amdhsa_kernel fft_rtc_back_len2250_factors_10_3_5_3_5_wgs_90_tpt_90_halfLds_half_ip_CI_unitstride_sbrr_R2C_dirReg
		.amdhsa_group_segment_fixed_size 0
		.amdhsa_private_segment_fixed_size 0
		.amdhsa_kernarg_size 88
		.amdhsa_user_sgpr_count 6
		.amdhsa_user_sgpr_private_segment_buffer 1
		.amdhsa_user_sgpr_dispatch_ptr 0
		.amdhsa_user_sgpr_queue_ptr 0
		.amdhsa_user_sgpr_kernarg_segment_ptr 1
		.amdhsa_user_sgpr_dispatch_id 0
		.amdhsa_user_sgpr_flat_scratch_init 0
		.amdhsa_user_sgpr_private_segment_size 0
		.amdhsa_uses_dynamic_stack 0
		.amdhsa_system_sgpr_private_segment_wavefront_offset 0
		.amdhsa_system_sgpr_workgroup_id_x 1
		.amdhsa_system_sgpr_workgroup_id_y 0
		.amdhsa_system_sgpr_workgroup_id_z 0
		.amdhsa_system_sgpr_workgroup_info 0
		.amdhsa_system_vgpr_workitem_id 0
		.amdhsa_next_free_vgpr 108
		.amdhsa_next_free_sgpr 22
		.amdhsa_reserve_vcc 1
		.amdhsa_reserve_flat_scratch 0
		.amdhsa_float_round_mode_32 0
		.amdhsa_float_round_mode_16_64 0
		.amdhsa_float_denorm_mode_32 3
		.amdhsa_float_denorm_mode_16_64 3
		.amdhsa_dx10_clamp 1
		.amdhsa_ieee_mode 1
		.amdhsa_fp16_overflow 0
		.amdhsa_exception_fp_ieee_invalid_op 0
		.amdhsa_exception_fp_denorm_src 0
		.amdhsa_exception_fp_ieee_div_zero 0
		.amdhsa_exception_fp_ieee_overflow 0
		.amdhsa_exception_fp_ieee_underflow 0
		.amdhsa_exception_fp_ieee_inexact 0
		.amdhsa_exception_int_div_zero 0
	.end_amdhsa_kernel
	.text
.Lfunc_end0:
	.size	fft_rtc_back_len2250_factors_10_3_5_3_5_wgs_90_tpt_90_halfLds_half_ip_CI_unitstride_sbrr_R2C_dirReg, .Lfunc_end0-fft_rtc_back_len2250_factors_10_3_5_3_5_wgs_90_tpt_90_halfLds_half_ip_CI_unitstride_sbrr_R2C_dirReg
                                        ; -- End function
	.section	.AMDGPU.csdata,"",@progbits
; Kernel info:
; codeLenInByte = 20048
; NumSgprs: 26
; NumVgprs: 108
; ScratchSize: 0
; MemoryBound: 0
; FloatMode: 240
; IeeeMode: 1
; LDSByteSize: 0 bytes/workgroup (compile time only)
; SGPRBlocks: 3
; VGPRBlocks: 26
; NumSGPRsForWavesPerEU: 26
; NumVGPRsForWavesPerEU: 108
; Occupancy: 2
; WaveLimiterHint : 1
; COMPUTE_PGM_RSRC2:SCRATCH_EN: 0
; COMPUTE_PGM_RSRC2:USER_SGPR: 6
; COMPUTE_PGM_RSRC2:TRAP_HANDLER: 0
; COMPUTE_PGM_RSRC2:TGID_X_EN: 1
; COMPUTE_PGM_RSRC2:TGID_Y_EN: 0
; COMPUTE_PGM_RSRC2:TGID_Z_EN: 0
; COMPUTE_PGM_RSRC2:TIDIG_COMP_CNT: 0
	.type	__hip_cuid_820da568cdaf95cd,@object ; @__hip_cuid_820da568cdaf95cd
	.section	.bss,"aw",@nobits
	.globl	__hip_cuid_820da568cdaf95cd
__hip_cuid_820da568cdaf95cd:
	.byte	0                               ; 0x0
	.size	__hip_cuid_820da568cdaf95cd, 1

	.ident	"AMD clang version 19.0.0git (https://github.com/RadeonOpenCompute/llvm-project roc-6.4.0 25133 c7fe45cf4b819c5991fe208aaa96edf142730f1d)"
	.section	".note.GNU-stack","",@progbits
	.addrsig
	.addrsig_sym __hip_cuid_820da568cdaf95cd
	.amdgpu_metadata
---
amdhsa.kernels:
  - .args:
      - .actual_access:  read_only
        .address_space:  global
        .offset:         0
        .size:           8
        .value_kind:     global_buffer
      - .offset:         8
        .size:           8
        .value_kind:     by_value
      - .actual_access:  read_only
        .address_space:  global
        .offset:         16
        .size:           8
        .value_kind:     global_buffer
      - .actual_access:  read_only
        .address_space:  global
        .offset:         24
        .size:           8
        .value_kind:     global_buffer
      - .offset:         32
        .size:           8
        .value_kind:     by_value
      - .actual_access:  read_only
        .address_space:  global
        .offset:         40
        .size:           8
        .value_kind:     global_buffer
      - .actual_access:  read_only
        .address_space:  global
        .offset:         48
        .size:           8
        .value_kind:     global_buffer
      - .offset:         56
        .size:           4
        .value_kind:     by_value
      - .actual_access:  read_only
        .address_space:  global
        .offset:         64
        .size:           8
        .value_kind:     global_buffer
      - .actual_access:  read_only
        .address_space:  global
        .offset:         72
        .size:           8
        .value_kind:     global_buffer
      - .address_space:  global
        .offset:         80
        .size:           8
        .value_kind:     global_buffer
    .group_segment_fixed_size: 0
    .kernarg_segment_align: 8
    .kernarg_segment_size: 88
    .language:       OpenCL C
    .language_version:
      - 2
      - 0
    .max_flat_workgroup_size: 90
    .name:           fft_rtc_back_len2250_factors_10_3_5_3_5_wgs_90_tpt_90_halfLds_half_ip_CI_unitstride_sbrr_R2C_dirReg
    .private_segment_fixed_size: 0
    .sgpr_count:     26
    .sgpr_spill_count: 0
    .symbol:         fft_rtc_back_len2250_factors_10_3_5_3_5_wgs_90_tpt_90_halfLds_half_ip_CI_unitstride_sbrr_R2C_dirReg.kd
    .uniform_work_group_size: 1
    .uses_dynamic_stack: false
    .vgpr_count:     108
    .vgpr_spill_count: 0
    .wavefront_size: 64
amdhsa.target:   amdgcn-amd-amdhsa--gfx906
amdhsa.version:
  - 1
  - 2
...

	.end_amdgpu_metadata
